;; amdgpu-corpus repo=ROCm/rocFFT kind=compiled arch=gfx906 opt=O3
	.text
	.amdgcn_target "amdgcn-amd-amdhsa--gfx906"
	.amdhsa_code_object_version 6
	.protected	fft_rtc_fwd_len935_factors_17_11_5_wgs_255_tpt_85_halfLds_dp_op_CI_CI_unitstride_sbrr_dirReg ; -- Begin function fft_rtc_fwd_len935_factors_17_11_5_wgs_255_tpt_85_halfLds_dp_op_CI_CI_unitstride_sbrr_dirReg
	.globl	fft_rtc_fwd_len935_factors_17_11_5_wgs_255_tpt_85_halfLds_dp_op_CI_CI_unitstride_sbrr_dirReg
	.p2align	8
	.type	fft_rtc_fwd_len935_factors_17_11_5_wgs_255_tpt_85_halfLds_dp_op_CI_CI_unitstride_sbrr_dirReg,@function
fft_rtc_fwd_len935_factors_17_11_5_wgs_255_tpt_85_halfLds_dp_op_CI_CI_unitstride_sbrr_dirReg: ; @fft_rtc_fwd_len935_factors_17_11_5_wgs_255_tpt_85_halfLds_dp_op_CI_CI_unitstride_sbrr_dirReg
; %bb.0:
	s_load_dwordx4 s[12:15], s[4:5], 0x58
	s_load_dwordx4 s[8:11], s[4:5], 0x0
	;; [unrolled: 1-line block ×3, first 2 shown]
	v_mul_u32_u24_e32 v1, 0x304, v0
	v_lshrrev_b32_e32 v1, 16, v1
	v_mad_u64_u32 v[1:2], s[0:1], s6, 3, v[1:2]
	v_mov_b32_e32 v5, 0
	v_mov_b32_e32 v3, 0
	;; [unrolled: 1-line block ×3, first 2 shown]
	s_waitcnt lgkmcnt(0)
	v_cmp_lt_u64_e64 s[0:1], s[10:11], 2
	v_mov_b32_e32 v4, 0
	v_mov_b32_e32 v105, v4
	;; [unrolled: 1-line block ×3, first 2 shown]
	s_and_b64 vcc, exec, s[0:1]
	v_mov_b32_e32 v104, v3
	v_mov_b32_e32 v106, v1
	s_cbranch_vccnz .LBB0_8
; %bb.1:
	s_load_dwordx2 s[0:1], s[4:5], 0x10
	s_add_u32 s2, s18, 8
	s_addc_u32 s3, s19, 0
	s_add_u32 s6, s16, 8
	v_mov_b32_e32 v3, 0
	s_addc_u32 s7, s17, 0
	v_mov_b32_e32 v4, 0
	s_waitcnt lgkmcnt(0)
	s_add_u32 s20, s0, 8
	v_mov_b32_e32 v105, v4
	v_mov_b32_e32 v8, v2
	s_addc_u32 s21, s1, 0
	s_mov_b64 s[22:23], 1
	v_mov_b32_e32 v104, v3
	v_mov_b32_e32 v7, v1
.LBB0_2:                                ; =>This Inner Loop Header: Depth=1
	s_load_dwordx2 s[24:25], s[20:21], 0x0
                                        ; implicit-def: $vgpr106_vgpr107
	s_waitcnt lgkmcnt(0)
	v_or_b32_e32 v6, s25, v8
	v_cmp_ne_u64_e32 vcc, 0, v[5:6]
	s_and_saveexec_b64 s[0:1], vcc
	s_xor_b64 s[26:27], exec, s[0:1]
	s_cbranch_execz .LBB0_4
; %bb.3:                                ;   in Loop: Header=BB0_2 Depth=1
	v_cvt_f32_u32_e32 v2, s24
	v_cvt_f32_u32_e32 v6, s25
	s_sub_u32 s0, 0, s24
	s_subb_u32 s1, 0, s25
	v_mac_f32_e32 v2, 0x4f800000, v6
	v_rcp_f32_e32 v2, v2
	v_mul_f32_e32 v2, 0x5f7ffffc, v2
	v_mul_f32_e32 v6, 0x2f800000, v2
	v_trunc_f32_e32 v6, v6
	v_mac_f32_e32 v2, 0xcf800000, v6
	v_cvt_u32_f32_e32 v6, v6
	v_cvt_u32_f32_e32 v2, v2
	v_mul_lo_u32 v9, s0, v6
	v_mul_hi_u32 v10, s0, v2
	v_mul_lo_u32 v12, s1, v2
	v_mul_lo_u32 v11, s0, v2
	v_add_u32_e32 v9, v10, v9
	v_add_u32_e32 v9, v9, v12
	v_mul_hi_u32 v10, v2, v11
	v_mul_lo_u32 v12, v2, v9
	v_mul_hi_u32 v14, v2, v9
	v_mul_hi_u32 v13, v6, v11
	v_mul_lo_u32 v11, v6, v11
	v_mul_hi_u32 v15, v6, v9
	v_add_co_u32_e32 v10, vcc, v10, v12
	v_addc_co_u32_e32 v12, vcc, 0, v14, vcc
	v_mul_lo_u32 v9, v6, v9
	v_add_co_u32_e32 v10, vcc, v10, v11
	v_addc_co_u32_e32 v10, vcc, v12, v13, vcc
	v_addc_co_u32_e32 v11, vcc, 0, v15, vcc
	v_add_co_u32_e32 v9, vcc, v10, v9
	v_addc_co_u32_e32 v10, vcc, 0, v11, vcc
	v_add_co_u32_e32 v2, vcc, v2, v9
	v_addc_co_u32_e32 v6, vcc, v6, v10, vcc
	v_mul_lo_u32 v9, s0, v6
	v_mul_hi_u32 v10, s0, v2
	v_mul_lo_u32 v11, s1, v2
	v_mul_lo_u32 v12, s0, v2
	v_add_u32_e32 v9, v10, v9
	v_add_u32_e32 v9, v9, v11
	v_mul_lo_u32 v13, v2, v9
	v_mul_hi_u32 v14, v2, v12
	v_mul_hi_u32 v15, v2, v9
	;; [unrolled: 1-line block ×3, first 2 shown]
	v_mul_lo_u32 v12, v6, v12
	v_mul_hi_u32 v10, v6, v9
	v_add_co_u32_e32 v13, vcc, v14, v13
	v_addc_co_u32_e32 v14, vcc, 0, v15, vcc
	v_mul_lo_u32 v9, v6, v9
	v_add_co_u32_e32 v12, vcc, v13, v12
	v_addc_co_u32_e32 v11, vcc, v14, v11, vcc
	v_addc_co_u32_e32 v10, vcc, 0, v10, vcc
	v_add_co_u32_e32 v9, vcc, v11, v9
	v_addc_co_u32_e32 v10, vcc, 0, v10, vcc
	v_add_co_u32_e32 v2, vcc, v2, v9
	v_addc_co_u32_e32 v6, vcc, v6, v10, vcc
	v_mad_u64_u32 v[9:10], s[0:1], v7, v6, 0
	v_mul_hi_u32 v11, v7, v2
	v_add_co_u32_e32 v13, vcc, v11, v9
	v_addc_co_u32_e32 v14, vcc, 0, v10, vcc
	v_mad_u64_u32 v[9:10], s[0:1], v8, v2, 0
	v_mad_u64_u32 v[11:12], s[0:1], v8, v6, 0
	v_add_co_u32_e32 v2, vcc, v13, v9
	v_addc_co_u32_e32 v2, vcc, v14, v10, vcc
	v_addc_co_u32_e32 v6, vcc, 0, v12, vcc
	v_add_co_u32_e32 v2, vcc, v2, v11
	v_addc_co_u32_e32 v6, vcc, 0, v6, vcc
	v_mul_lo_u32 v11, s25, v2
	v_mul_lo_u32 v12, s24, v6
	v_mad_u64_u32 v[9:10], s[0:1], s24, v2, 0
	v_add3_u32 v10, v10, v12, v11
	v_sub_u32_e32 v11, v8, v10
	v_mov_b32_e32 v12, s25
	v_sub_co_u32_e32 v9, vcc, v7, v9
	v_subb_co_u32_e64 v11, s[0:1], v11, v12, vcc
	v_subrev_co_u32_e64 v12, s[0:1], s24, v9
	v_subbrev_co_u32_e64 v11, s[0:1], 0, v11, s[0:1]
	v_cmp_le_u32_e64 s[0:1], s25, v11
	v_cndmask_b32_e64 v13, 0, -1, s[0:1]
	v_cmp_le_u32_e64 s[0:1], s24, v12
	v_cndmask_b32_e64 v12, 0, -1, s[0:1]
	v_cmp_eq_u32_e64 s[0:1], s25, v11
	v_cndmask_b32_e64 v11, v13, v12, s[0:1]
	v_add_co_u32_e64 v12, s[0:1], 2, v2
	v_addc_co_u32_e64 v13, s[0:1], 0, v6, s[0:1]
	v_add_co_u32_e64 v14, s[0:1], 1, v2
	v_addc_co_u32_e64 v15, s[0:1], 0, v6, s[0:1]
	v_subb_co_u32_e32 v10, vcc, v8, v10, vcc
	v_cmp_ne_u32_e64 s[0:1], 0, v11
	v_cmp_le_u32_e32 vcc, s25, v10
	v_cndmask_b32_e64 v11, v15, v13, s[0:1]
	v_cndmask_b32_e64 v13, 0, -1, vcc
	v_cmp_le_u32_e32 vcc, s24, v9
	v_cndmask_b32_e64 v9, 0, -1, vcc
	v_cmp_eq_u32_e32 vcc, s25, v10
	v_cndmask_b32_e32 v9, v13, v9, vcc
	v_cmp_ne_u32_e32 vcc, 0, v9
	v_cndmask_b32_e32 v107, v6, v11, vcc
	v_cndmask_b32_e64 v6, v14, v12, s[0:1]
	v_cndmask_b32_e32 v106, v2, v6, vcc
.LBB0_4:                                ;   in Loop: Header=BB0_2 Depth=1
	s_andn2_saveexec_b64 s[0:1], s[26:27]
	s_cbranch_execz .LBB0_6
; %bb.5:                                ;   in Loop: Header=BB0_2 Depth=1
	v_cvt_f32_u32_e32 v2, s24
	s_sub_i32 s26, 0, s24
	v_mov_b32_e32 v107, v5
	v_rcp_iflag_f32_e32 v2, v2
	v_mul_f32_e32 v2, 0x4f7ffffe, v2
	v_cvt_u32_f32_e32 v2, v2
	v_mul_lo_u32 v6, s26, v2
	v_mul_hi_u32 v6, v2, v6
	v_add_u32_e32 v2, v2, v6
	v_mul_hi_u32 v2, v7, v2
	v_mul_lo_u32 v6, v2, s24
	v_add_u32_e32 v9, 1, v2
	v_sub_u32_e32 v6, v7, v6
	v_subrev_u32_e32 v10, s24, v6
	v_cmp_le_u32_e32 vcc, s24, v6
	v_cndmask_b32_e32 v6, v6, v10, vcc
	v_cndmask_b32_e32 v2, v2, v9, vcc
	v_add_u32_e32 v9, 1, v2
	v_cmp_le_u32_e32 vcc, s24, v6
	v_cndmask_b32_e32 v106, v2, v9, vcc
.LBB0_6:                                ;   in Loop: Header=BB0_2 Depth=1
	s_or_b64 exec, exec, s[0:1]
	v_mul_lo_u32 v2, v107, s24
	v_mul_lo_u32 v6, v106, s25
	v_mad_u64_u32 v[9:10], s[0:1], v106, s24, 0
	s_load_dwordx2 s[0:1], s[6:7], 0x0
	s_load_dwordx2 s[24:25], s[2:3], 0x0
	v_add3_u32 v2, v10, v6, v2
	v_sub_co_u32_e32 v6, vcc, v7, v9
	v_subb_co_u32_e32 v2, vcc, v8, v2, vcc
	s_waitcnt lgkmcnt(0)
	v_mul_lo_u32 v7, s0, v2
	v_mul_lo_u32 v8, s1, v6
	v_mad_u64_u32 v[3:4], s[0:1], s0, v6, v[3:4]
	s_add_u32 s22, s22, 1
	s_addc_u32 s23, s23, 0
	s_add_u32 s2, s2, 8
	v_mul_lo_u32 v2, s24, v2
	v_mul_lo_u32 v9, s25, v6
	v_mad_u64_u32 v[104:105], s[0:1], s24, v6, v[104:105]
	v_add3_u32 v4, v8, v4, v7
	s_addc_u32 s3, s3, 0
	v_mov_b32_e32 v6, s10
	s_add_u32 s6, s6, 8
	v_mov_b32_e32 v7, s11
	s_addc_u32 s7, s7, 0
	v_cmp_ge_u64_e32 vcc, s[22:23], v[6:7]
	s_add_u32 s20, s20, 8
	v_add3_u32 v105, v9, v105, v2
	s_addc_u32 s21, s21, 0
	s_cbranch_vccnz .LBB0_8
; %bb.7:                                ;   in Loop: Header=BB0_2 Depth=1
	v_mov_b32_e32 v7, v106
	v_mov_b32_e32 v8, v107
	s_branch .LBB0_2
.LBB0_8:
	s_load_dwordx2 s[0:1], s[4:5], 0x28
	s_mov_b32 s4, 0x3030304
	v_mul_hi_u32 v2, v0, s4
	s_lshl_b64 s[2:3], s[10:11], 3
	s_add_u32 s4, s18, s2
	s_waitcnt lgkmcnt(0)
	v_cmp_gt_u64_e32 vcc, s[0:1], v[106:107]
	v_mul_u32_u24_e32 v2, 0x55, v2
	v_sub_u32_e32 v102, v0, v2
	v_cmp_gt_u32_e64 s[0:1], 55, v102
	s_addc_u32 s5, s19, s3
	s_and_b64 s[10:11], vcc, s[0:1]
                                        ; implicit-def: $vgpr28_vgpr29
                                        ; implicit-def: $vgpr24_vgpr25
                                        ; implicit-def: $vgpr20_vgpr21
                                        ; implicit-def: $vgpr32_vgpr33
                                        ; implicit-def: $vgpr36_vgpr37
                                        ; implicit-def: $vgpr40_vgpr41
                                        ; implicit-def: $vgpr48_vgpr49
                                        ; implicit-def: $vgpr52_vgpr53
                                        ; implicit-def: $vgpr80_vgpr81
                                        ; implicit-def: $vgpr44_vgpr45
                                        ; implicit-def: $vgpr64_vgpr65
                                        ; implicit-def: $vgpr72_vgpr73
                                        ; implicit-def: $vgpr76_vgpr77
                                        ; implicit-def: $vgpr68_vgpr69
                                        ; implicit-def: $vgpr60_vgpr61
                                        ; implicit-def: $vgpr56_vgpr57
                                        ; implicit-def: $vgpr16_vgpr17
	s_and_saveexec_b64 s[6:7], s[10:11]
	s_cbranch_execz .LBB0_10
; %bb.9:
	s_add_u32 s2, s16, s2
	s_addc_u32 s3, s17, s3
	s_load_dwordx2 s[2:3], s[2:3], 0x0
	v_mov_b32_e32 v7, s13
	v_mov_b32_e32 v103, 0
	s_waitcnt lgkmcnt(0)
	v_mul_lo_u32 v0, s3, v106
	v_mul_lo_u32 v2, s2, v107
	v_mad_u64_u32 v[5:6], s[2:3], s2, v106, 0
	v_add3_u32 v6, v6, v2, v0
	v_lshlrev_b64 v[5:6], 4, v[5:6]
	v_lshlrev_b64 v[2:3], 4, v[3:4]
	v_add_co_u32_e64 v0, s[2:3], s12, v5
	v_addc_co_u32_e64 v5, s[2:3], v7, v6, s[2:3]
	v_add_co_u32_e64 v0, s[2:3], v0, v2
	v_addc_co_u32_e64 v4, s[2:3], v5, v3, s[2:3]
	v_lshlrev_b64 v[2:3], 4, v[102:103]
	v_add_co_u32_e64 v2, s[2:3], v0, v2
	v_addc_co_u32_e64 v3, s[2:3], v4, v3, s[2:3]
	s_movk_i32 s2, 0x1000
	v_add_co_u32_e64 v4, s[2:3], s2, v2
	v_addc_co_u32_e64 v5, s[2:3], 0, v3, s[2:3]
	s_movk_i32 s2, 0x2000
	;; [unrolled: 3-line block ×3, first 2 shown]
	global_load_dwordx4 v[14:17], v[2:3], off
	global_load_dwordx4 v[54:57], v[2:3], off offset:880
	global_load_dwordx4 v[58:61], v[2:3], off offset:1760
	;; [unrolled: 1-line block ×7, first 2 shown]
	v_add_co_u32_e64 v2, s[2:3], s2, v2
	v_addc_co_u32_e64 v3, s[2:3], 0, v3, s[2:3]
	global_load_dwordx4 v[78:81], v[4:5], off offset:2944
	global_load_dwordx4 v[50:53], v[4:5], off offset:3824
	;; [unrolled: 1-line block ×9, first 2 shown]
.LBB0_10:
	s_or_b64 exec, exec, s[6:7]
	s_waitcnt vmcnt(0)
	v_add_f64 v[8:9], v[26:27], v[54:55]
	s_mov_b32 s12, 0xc61f0d01
	s_mov_b32 s13, 0xbfd183b1
	v_add_f64 v[10:11], v[56:57], -v[28:29]
	v_add_f64 v[12:13], v[22:23], v[58:59]
	s_mov_b32 s2, 0x3259b75e
	s_mov_b32 s34, 0x923c349f
	;; [unrolled: 1-line block ×3, first 2 shown]
	v_mul_f64 v[126:127], v[8:9], s[12:13]
	s_mov_b32 s3, 0x3fb79ee6
	s_mov_b32 s35, 0xbfeec746
	;; [unrolled: 1-line block ×3, first 2 shown]
	v_mul_f64 v[110:111], v[8:9], s[2:3]
	v_add_f64 v[82:83], v[60:61], -v[24:25]
	v_mul_f64 v[124:125], v[12:13], s[10:11]
	v_add_f64 v[84:85], v[18:19], v[66:67]
	v_fma_f64 v[4:5], v[10:11], s[34:35], v[126:127]
	s_mov_b32 s18, 0xeb564b22
	s_mov_b32 s6, 0x7faef3
	;; [unrolled: 1-line block ×8, first 2 shown]
	v_fma_f64 v[2:3], v[10:11], s[18:19], v[110:111]
	v_mul_f64 v[114:115], v[12:13], s[6:7]
	v_add_f64 v[4:5], v[14:15], v[4:5]
	v_fma_f64 v[88:89], v[82:83], s[36:37], v[124:125]
	v_add_f64 v[86:87], v[68:69], -v[20:21]
	v_mul_f64 v[132:133], v[84:85], s[16:17]
	s_mov_b32 s24, 0xacd6c6b4
	s_mov_b32 s26, 0x2a9d6da3
	;; [unrolled: 1-line block ×4, first 2 shown]
	v_add_f64 v[2:3], v[14:15], v[2:3]
	v_fma_f64 v[6:7], v[82:83], s[24:25], v[114:115]
	v_mul_f64 v[118:119], v[84:85], s[12:13]
	v_add_f64 v[4:5], v[88:89], v[4:5]
	v_fma_f64 v[90:91], v[86:87], s[26:27], v[132:133]
	v_add_f64 v[88:89], v[30:31], v[74:75]
	s_mov_b32 s22, 0x370991
	s_mov_b32 s20, 0x2b2883cd
	;; [unrolled: 1-line block ×6, first 2 shown]
	v_add_f64 v[2:3], v[6:7], v[2:3]
	v_fma_f64 v[6:7], v[86:87], s[38:39], v[118:119]
	v_add_f64 v[4:5], v[90:91], v[4:5]
	v_add_f64 v[92:93], v[76:77], -v[32:33]
	v_mul_f64 v[98:99], v[88:89], s[22:23]
	v_mul_f64 v[146:147], v[88:89], s[20:21]
	v_add_f64 v[90:91], v[34:35], v[70:71]
	s_mov_b32 s30, 0x5d8e7cdc
	s_mov_b32 s40, 0x7c9e640b
	;; [unrolled: 1-line block ×6, first 2 shown]
	v_add_f64 v[2:3], v[6:7], v[2:3]
	v_fma_f64 v[6:7], v[92:93], s[42:43], v[98:99]
	v_add_f64 v[96:97], v[72:73], -v[36:37]
	v_mul_f64 v[100:101], v[90:91], s[20:21]
	v_fma_f64 v[94:95], v[92:93], s[40:41], v[146:147]
	s_mov_b32 s28, 0x6ed5f1bb
	s_mov_b32 s29, 0xbfe348c8
	v_mul_f64 v[156:157], v[8:9], s[20:21]
	v_mul_f64 v[166:167], v[8:9], s[28:29]
	v_add_f64 v[2:3], v[6:7], v[2:3]
	s_mov_b32 s44, 0x6c9a05f6
	v_fma_f64 v[6:7], v[96:97], s[40:41], v[100:101]
	v_add_f64 v[4:5], v[94:95], v[4:5]
	v_add_f64 v[94:95], v[38:39], v[62:63]
	s_mov_b32 s45, 0xbfe9895b
	v_add_f64 v[112:113], v[64:65], -v[40:41]
	v_mul_f64 v[158:159], v[12:13], s[28:29]
	v_fma_f64 v[108:109], v[10:11], s[44:45], v[166:167]
	v_mul_f64 v[168:169], v[12:13], s[12:13]
	v_add_f64 v[2:3], v[6:7], v[2:3]
	v_fma_f64 v[6:7], v[10:11], s[40:41], v[156:157]
	v_mul_f64 v[128:129], v[94:95], s[10:11]
	s_mov_b32 s47, 0xbfe0d888
	s_mov_b32 s46, s36
	v_mul_f64 v[152:153], v[90:91], s[6:7]
	v_fma_f64 v[122:123], v[82:83], s[44:45], v[158:159]
	v_add_f64 v[108:109], v[14:15], v[108:109]
	v_fma_f64 v[130:131], v[82:83], s[38:39], v[168:169]
	v_add_f64 v[6:7], v[14:15], v[6:7]
	v_fma_f64 v[120:121], v[112:113], s[46:47], v[128:129]
	v_mul_f64 v[134:135], v[84:85], s[6:7]
	v_mul_f64 v[172:173], v[84:85], s[22:23]
	s_mov_b32 s57, 0x3fc7851a
	s_mov_b32 s56, s24
	v_fma_f64 v[116:117], v[96:97], s[24:25], v[152:153]
	v_mul_f64 v[160:161], v[94:95], s[2:3]
	v_add_f64 v[6:7], v[122:123], v[6:7]
	v_add_f64 v[2:3], v[120:121], v[2:3]
	;; [unrolled: 1-line block ×3, first 2 shown]
	v_fma_f64 v[120:121], v[86:87], s[56:57], v[134:135]
	v_fma_f64 v[122:123], v[86:87], s[30:31], v[172:173]
	v_mul_f64 v[136:137], v[88:89], s[12:13]
	v_mul_f64 v[174:175], v[88:89], s[10:11]
	s_mov_b32 s51, 0x3fefdd0d
	s_mov_b32 s50, s18
	v_add_f64 v[4:5], v[116:117], v[4:5]
	v_fma_f64 v[130:131], v[112:113], s[50:51], v[160:161]
	v_add_f64 v[116:117], v[46:47], v[42:43]
	v_add_f64 v[6:7], v[120:121], v[6:7]
	;; [unrolled: 1-line block ×3, first 2 shown]
	v_fma_f64 v[120:121], v[92:93], s[38:39], v[136:137]
	v_fma_f64 v[142:143], v[92:93], s[46:47], v[174:175]
	v_mul_f64 v[138:139], v[90:91], s[16:17]
	v_mul_f64 v[170:171], v[90:91], s[2:3]
	v_add_f64 v[4:5], v[130:131], v[4:5]
	v_add_f64 v[122:123], v[44:45], -v[48:49]
	v_mul_f64 v[140:141], v[116:117], s[28:29]
	v_mul_f64 v[164:165], v[94:95], s[16:17]
	v_add_f64 v[6:7], v[120:121], v[6:7]
	v_add_f64 v[108:109], v[142:143], v[108:109]
	v_fma_f64 v[130:131], v[96:97], s[26:27], v[138:139]
	v_fma_f64 v[144:145], v[96:97], s[50:51], v[170:171]
	v_mul_f64 v[142:143], v[94:95], s[22:23]
	s_mov_b32 s49, 0x3fe9895b
	s_mov_b32 s48, s44
	;; [unrolled: 1-line block ×4, first 2 shown]
	v_fma_f64 v[178:179], v[122:123], s[48:49], v[140:141]
	v_mul_f64 v[162:163], v[116:117], s[22:23]
	v_add_f64 v[120:121], v[50:51], v[78:79]
	v_add_f64 v[6:7], v[130:131], v[6:7]
	;; [unrolled: 1-line block ×3, first 2 shown]
	v_fma_f64 v[148:149], v[112:113], s[30:31], v[142:143]
	v_fma_f64 v[180:181], v[112:113], s[54:55], v[164:165]
	v_mul_f64 v[144:145], v[116:117], s[2:3]
	v_mul_f64 v[176:177], v[116:117], s[6:7]
	v_fma_f64 v[182:183], v[122:123], s[30:31], v[162:163]
	v_add_f64 v[130:131], v[80:81], -v[52:53]
	v_mul_f64 v[150:151], v[120:121], s[16:17]
	v_mul_f64 v[154:155], v[120:121], s[28:29]
	v_add_f64 v[6:7], v[148:149], v[6:7]
	v_add_f64 v[108:109], v[180:181], v[108:109]
	v_fma_f64 v[180:181], v[122:123], s[18:19], v[144:145]
	v_fma_f64 v[184:185], v[122:123], s[24:25], v[176:177]
	v_mul_f64 v[148:149], v[120:121], s[10:11]
	v_add_f64 v[2:3], v[178:179], v[2:3]
	v_mul_f64 v[178:179], v[120:121], s[20:21]
	s_mov_b32 s53, 0x3feca52d
	s_mov_b32 s52, s40
	v_add_f64 v[4:5], v[182:183], v[4:5]
	v_fma_f64 v[182:183], v[130:131], s[26:27], v[150:151]
	v_fma_f64 v[186:187], v[130:131], s[44:45], v[154:155]
	v_add_f64 v[180:181], v[180:181], v[6:7]
	v_add_f64 v[184:185], v[184:185], v[108:109]
	v_fma_f64 v[108:109], v[130:131], s[46:47], v[148:149]
	v_fma_f64 v[188:189], v[130:131], s[52:53], v[178:179]
	s_mov_b32 s33, 0xaaaaaaab
	v_mul_hi_u32 v0, v1, s33
	v_add_f64 v[6:7], v[182:183], v[2:3]
	v_add_f64 v[4:5], v[186:187], v[4:5]
	v_lshrrev_b32_e32 v0, 1, v0
	v_add_f64 v[108:109], v[108:109], v[180:181]
	v_add_f64 v[2:3], v[188:189], v[184:185]
	v_lshl_add_u32 v0, v0, 1, v0
	v_sub_u32_e32 v0, v1, v0
	v_mul_u32_u24_e32 v0, 0x3a7, v0
	v_lshlrev_b32_e32 v103, 3, v0
	s_and_saveexec_b64 s[58:59], s[0:1]
	s_cbranch_execz .LBB0_12
; %bb.11:
	v_mul_f64 v[208:209], v[10:11], s[24:25]
	v_mul_f64 v[182:183], v[10:11], s[34:35]
	;; [unrolled: 1-line block ×8, first 2 shown]
	v_fma_f64 v[224:225], v[8:9], s[6:7], v[208:209]
	v_fma_f64 v[208:209], v[8:9], s[6:7], -v[208:209]
	v_fma_f64 v[236:237], v[12:13], s[22:23], v[222:223]
	v_fma_f64 v[222:223], v[12:13], s[22:23], -v[222:223]
	v_add_f64 v[126:127], v[126:127], -v[182:183]
	v_mul_f64 v[242:243], v[10:11], s[46:47]
	v_mul_f64 v[244:245], v[92:93], s[26:27]
	v_fma_f64 v[246:247], v[84:85], s[10:11], v[234:235]
	v_add_f64 v[224:225], v[14:15], v[224:225]
	v_add_f64 v[208:209], v[14:15], v[208:209]
	v_fma_f64 v[234:235], v[84:85], s[10:11], -v[234:235]
	v_add_f64 v[166:167], v[166:167], -v[184:185]
	v_add_f64 v[124:125], v[124:125], -v[190:191]
	v_add_f64 v[126:127], v[14:15], v[126:127]
	v_mul_f64 v[200:201], v[86:87], s[30:31]
	v_mul_f64 v[206:207], v[92:93], s[40:41]
	v_add_f64 v[224:225], v[236:237], v[224:225]
	v_add_f64 v[208:209], v[222:223], v[208:209]
	v_mul_f64 v[222:223], v[96:97], s[44:45]
	v_mul_f64 v[236:237], v[82:83], s[52:53]
	v_fma_f64 v[248:249], v[8:9], s[10:11], v[242:243]
	v_fma_f64 v[250:251], v[88:89], s[16:17], v[244:245]
	v_fma_f64 v[242:243], v[8:9], s[10:11], -v[242:243]
	v_fma_f64 v[244:245], v[88:89], s[16:17], -v[244:245]
	v_add_f64 v[224:225], v[246:247], v[224:225]
	v_add_f64 v[208:209], v[234:235], v[208:209]
	v_add_f64 v[168:169], v[168:169], -v[192:193]
	v_add_f64 v[166:167], v[14:15], v[166:167]
	v_add_f64 v[132:133], v[132:133], -v[198:199]
	v_add_f64 v[124:125], v[124:125], v[126:127]
	v_mul_f64 v[180:181], v[10:11], s[18:19]
	v_mul_f64 v[210:211], v[92:93], s[46:47]
	;; [unrolled: 1-line block ×5, first 2 shown]
	v_fma_f64 v[246:247], v[12:13], s[20:21], v[236:237]
	v_add_f64 v[248:249], v[14:15], v[248:249]
	v_fma_f64 v[236:237], v[12:13], s[20:21], -v[236:237]
	v_add_f64 v[242:243], v[14:15], v[242:243]
	v_add_f64 v[224:225], v[250:251], v[224:225]
	v_fma_f64 v[250:251], v[90:91], s[28:29], v[222:223]
	v_fma_f64 v[222:223], v[90:91], s[28:29], -v[222:223]
	v_add_f64 v[208:209], v[244:245], v[208:209]
	v_add_f64 v[126:127], v[172:173], -v[200:201]
	v_add_f64 v[166:167], v[168:169], v[166:167]
	v_add_f64 v[146:147], v[146:147], -v[206:207]
	v_add_f64 v[124:125], v[132:133], v[124:125]
	v_mul_f64 v[0:1], v[10:11], s[40:41]
	v_mul_f64 v[188:189], v[82:83], s[24:25]
	;; [unrolled: 1-line block ×5, first 2 shown]
	v_add_f64 v[246:247], v[246:247], v[248:249]
	v_fma_f64 v[248:249], v[84:85], s[2:3], v[234:235]
	v_add_f64 v[236:237], v[236:237], v[242:243]
	v_fma_f64 v[242:243], v[94:95], s[20:21], v[240:241]
	v_fma_f64 v[234:235], v[84:85], s[2:3], -v[234:235]
	v_add_f64 v[208:209], v[222:223], v[208:209]
	v_fma_f64 v[240:241], v[94:95], s[20:21], -v[240:241]
	v_add_f64 v[132:133], v[174:175], -v[210:211]
	v_add_f64 v[126:127], v[126:127], v[166:167]
	v_add_f64 v[110:111], v[110:111], -v[180:181]
	v_add_f64 v[152:153], v[152:153], -v[216:217]
	v_add_f64 v[124:125], v[146:147], v[124:125]
	v_mul_f64 v[186:187], v[82:83], s[44:45]
	v_mul_f64 v[196:197], v[86:87], s[38:39]
	;; [unrolled: 1-line block ×3, first 2 shown]
	v_add_f64 v[224:225], v[250:251], v[224:225]
	v_fma_f64 v[250:251], v[88:89], s[28:29], v[244:245]
	v_add_f64 v[234:235], v[234:235], v[236:237]
	v_fma_f64 v[244:245], v[88:89], s[28:29], -v[244:245]
	v_add_f64 v[208:209], v[240:241], v[208:209]
	v_mul_f64 v[240:241], v[122:123], s[30:31]
	v_add_f64 v[146:147], v[170:171], -v[218:219]
	v_add_f64 v[126:127], v[132:133], v[126:127]
	v_add_f64 v[114:115], v[114:115], -v[188:189]
	v_add_f64 v[110:111], v[14:15], v[110:111]
	v_add_f64 v[160:161], v[160:161], -v[228:229]
	v_add_f64 v[0:1], v[156:157], -v[0:1]
	v_add_f64 v[124:125], v[152:153], v[124:125]
	v_mul_f64 v[194:195], v[86:87], s[56:57]
	v_add_f64 v[234:235], v[244:245], v[234:235]
	v_mul_f64 v[244:245], v[122:123], s[24:25]
	v_add_f64 v[152:153], v[164:165], -v[230:231]
	v_add_f64 v[126:127], v[146:147], v[126:127]
	v_add_f64 v[146:147], v[162:163], -v[240:241]
	v_add_f64 v[118:119], v[118:119], -v[196:197]
	v_add_f64 v[110:111], v[114:115], v[110:111]
	v_add_f64 v[114:115], v[158:159], -v[186:187]
	v_add_f64 v[0:1], v[14:15], v[0:1]
	v_add_f64 v[124:125], v[160:161], v[124:125]
	;; [unrolled: 1-line block ×3, first 2 shown]
	v_mul_f64 v[204:205], v[92:93], s[42:43]
	v_add_f64 v[132:133], v[176:177], -v[244:245]
	v_add_f64 v[126:127], v[152:153], v[126:127]
	v_add_f64 v[110:111], v[118:119], v[110:111]
	v_add_f64 v[118:119], v[134:135], -v[194:195]
	v_add_f64 v[0:1], v[114:115], v[0:1]
	v_add_f64 v[114:115], v[146:147], v[124:125]
	v_add_f64 v[124:125], v[58:59], v[156:157]
	v_mul_f64 v[202:203], v[92:93], s[38:39]
	v_mul_f64 v[214:215], v[96:97], s[40:41]
	;; [unrolled: 1-line block ×3, first 2 shown]
	v_add_f64 v[246:247], v[248:249], v[246:247]
	v_add_f64 v[98:99], v[98:99], -v[204:205]
	v_add_f64 v[126:127], v[132:133], v[126:127]
	v_mul_f64 v[132:133], v[10:11], s[54:55]
	v_add_f64 v[0:1], v[118:119], v[0:1]
	v_add_f64 v[118:119], v[66:67], v[124:125]
	v_mul_f64 v[212:213], v[96:97], s[26:27]
	v_mul_f64 v[226:227], v[112:113], s[46:47]
	v_add_f64 v[224:225], v[242:243], v[224:225]
	v_fma_f64 v[242:243], v[90:91], s[22:23], v[222:223]
	v_add_f64 v[246:247], v[250:251], v[246:247]
	v_mul_f64 v[250:251], v[112:113], s[24:25]
	v_add_f64 v[100:101], v[100:101], -v[214:215]
	v_add_f64 v[98:99], v[98:99], v[110:111]
	v_add_f64 v[110:111], v[136:137], -v[202:203]
	v_mul_f64 v[124:125], v[82:83], s[18:19]
	v_fma_f64 v[134:135], v[8:9], s[16:17], v[132:133]
	v_add_f64 v[118:119], v[74:75], v[118:119]
	v_mul_f64 v[220:221], v[112:113], s[30:31]
	v_mul_f64 v[248:249], v[122:123], s[48:49]
	v_add_f64 v[242:243], v[242:243], v[246:247]
	v_fma_f64 v[246:247], v[94:95], s[6:7], v[250:251]
	v_add_f64 v[128:129], v[128:129], -v[226:227]
	v_add_f64 v[98:99], v[100:101], v[98:99]
	v_add_f64 v[100:101], v[138:139], -v[212:213]
	v_add_f64 v[0:1], v[110:111], v[0:1]
	v_mul_f64 v[110:111], v[86:87], s[44:45]
	v_fma_f64 v[136:137], v[12:13], s[2:3], v[124:125]
	v_add_f64 v[134:135], v[14:15], v[134:135]
	v_add_f64 v[118:119], v[70:71], v[118:119]
	v_mul_f64 v[232:233], v[122:123], s[18:19]
	v_add_f64 v[242:243], v[246:247], v[242:243]
	v_mul_f64 v[246:247], v[130:131], s[44:45]
	v_add_f64 v[138:139], v[140:141], -v[248:249]
	v_add_f64 v[98:99], v[128:129], v[98:99]
	v_add_f64 v[128:129], v[142:143], -v[220:221]
	v_add_f64 v[0:1], v[100:101], v[0:1]
	v_mul_f64 v[100:101], v[92:93], s[24:25]
	v_fma_f64 v[140:141], v[84:85], s[28:29], v[110:111]
	v_add_f64 v[134:135], v[136:137], v[134:135]
	v_add_f64 v[118:119], v[62:63], v[118:119]
	v_add_f64 v[152:153], v[154:155], -v[246:247]
	v_add_f64 v[98:99], v[138:139], v[98:99]
	v_add_f64 v[138:139], v[144:145], -v[232:233]
	v_add_f64 v[0:1], v[128:129], v[0:1]
	v_mul_f64 v[128:129], v[96:97], s[36:37]
	v_fma_f64 v[142:143], v[88:89], s[6:7], v[100:101]
	v_add_f64 v[134:135], v[140:141], v[134:135]
	v_mul_f64 v[10:11], v[10:11], s[30:31]
	v_add_f64 v[118:119], v[42:43], v[118:119]
	v_add_f64 v[114:115], v[152:153], v[114:115]
	v_mul_f64 v[82:83], v[82:83], s[54:55]
	v_add_f64 v[0:1], v[138:139], v[0:1]
	v_fma_f64 v[138:139], v[90:91], s[10:11], v[128:129]
	v_fma_f64 v[132:133], v[8:9], s[16:17], -v[132:133]
	v_add_f64 v[134:135], v[142:143], v[134:135]
	v_fma_f64 v[152:153], v[8:9], s[22:23], -v[10:11]
	v_add_f64 v[118:119], v[78:79], v[118:119]
	v_mul_f64 v[86:87], v[86:87], s[40:41]
	v_fma_f64 v[8:9], v[8:9], s[22:23], v[10:11]
	v_fma_f64 v[10:11], v[12:13], s[16:17], -v[82:83]
	v_fma_f64 v[124:125], v[12:13], s[2:3], -v[124:125]
	v_add_f64 v[132:133], v[14:15], v[132:133]
	v_add_f64 v[134:135], v[138:139], v[134:135]
	;; [unrolled: 1-line block ×4, first 2 shown]
	v_mul_f64 v[92:93], v[92:93], s[18:19]
	v_fma_f64 v[12:13], v[12:13], s[16:17], v[82:83]
	v_add_f64 v[8:9], v[14:15], v[8:9]
	v_fma_f64 v[14:15], v[84:85], s[20:21], -v[86:87]
	v_fma_f64 v[110:111], v[84:85], s[28:29], -v[110:111]
	v_mul_f64 v[238:239], v[122:123], s[34:35]
	v_add_f64 v[10:11], v[10:11], v[138:139]
	v_add_f64 v[82:83], v[46:47], v[118:119]
	;; [unrolled: 1-line block ×3, first 2 shown]
	v_mul_f64 v[96:97], v[96:97], s[34:35]
	v_fma_f64 v[84:85], v[84:85], s[20:21], v[86:87]
	v_add_f64 v[8:9], v[12:13], v[8:9]
	v_fma_f64 v[12:13], v[88:89], s[2:3], -v[92:93]
	v_fma_f64 v[100:101], v[88:89], s[6:7], -v[100:101]
	v_add_f64 v[10:11], v[14:15], v[10:11]
	v_add_f64 v[14:15], v[38:39], v[82:83]
	;; [unrolled: 1-line block ×3, first 2 shown]
	v_fma_f64 v[222:223], v[90:91], s[22:23], -v[222:223]
	v_fma_f64 v[236:237], v[116:117], s[12:13], v[238:239]
	v_fma_f64 v[238:239], v[116:117], s[12:13], -v[238:239]
	v_mul_f64 v[110:111], v[112:113], s[44:45]
	v_fma_f64 v[88:89], v[88:89], s[2:3], v[92:93]
	v_add_f64 v[8:9], v[84:85], v[8:9]
	v_fma_f64 v[84:85], v[90:91], s[12:13], -v[96:97]
	v_add_f64 v[10:11], v[12:13], v[10:11]
	v_add_f64 v[12:13], v[34:35], v[14:15]
	v_mul_f64 v[146:147], v[112:113], s[38:39]
	v_fma_f64 v[86:87], v[90:91], s[10:11], -v[128:129]
	v_add_f64 v[14:15], v[100:101], v[82:83]
	v_fma_f64 v[250:251], v[94:95], s[6:7], -v[250:251]
	v_add_f64 v[222:223], v[222:223], v[234:235]
	v_mul_f64 v[234:235], v[122:123], s[26:27]
	v_add_f64 v[208:209], v[238:239], v[208:209]
	v_mul_f64 v[238:239], v[130:131], s[26:27]
	v_mul_f64 v[92:93], v[122:123], s[46:47]
	v_fma_f64 v[90:91], v[90:91], s[12:13], v[96:97]
	v_add_f64 v[8:9], v[88:89], v[8:9]
	v_fma_f64 v[88:89], v[94:95], s[28:29], -v[110:111]
	v_add_f64 v[10:11], v[84:85], v[10:11]
	v_add_f64 v[12:13], v[30:31], v[12:13]
	v_mul_f64 v[144:145], v[122:123], s[52:53]
	v_fma_f64 v[82:83], v[94:95], s[12:13], -v[146:147]
	v_add_f64 v[14:15], v[86:87], v[14:15]
	v_add_f64 v[222:223], v[250:251], v[222:223]
	v_fma_f64 v[250:251], v[116:117], s[16:17], v[234:235]
	v_mul_f64 v[192:193], v[130:131], s[34:35]
	v_fma_f64 v[234:235], v[116:117], s[16:17], -v[234:235]
	v_add_f64 v[224:225], v[236:237], v[224:225]
	v_mul_f64 v[236:237], v[130:131], s[46:47]
	v_add_f64 v[136:137], v[150:151], -v[238:239]
	v_fma_f64 v[150:151], v[94:95], s[12:13], v[146:147]
	v_mul_f64 v[86:87], v[130:131], s[24:25]
	v_fma_f64 v[94:95], v[94:95], s[28:29], v[110:111]
	v_add_f64 v[8:9], v[90:91], v[8:9]
	v_fma_f64 v[90:91], v[116:117], s[10:11], -v[92:93]
	v_add_f64 v[10:11], v[88:89], v[10:11]
	v_add_f64 v[12:13], v[18:19], v[12:13]
	v_mul_f64 v[142:143], v[130:131], s[42:43]
	v_fma_f64 v[84:85], v[116:117], s[20:21], -v[144:145]
	v_add_f64 v[14:15], v[82:83], v[14:15]
	v_mul_f64 v[184:185], v[130:131], s[52:53]
	v_fma_f64 v[168:169], v[120:121], s[12:13], -v[192:193]
	v_add_f64 v[172:173], v[234:235], v[222:223]
	v_mul_f64 v[182:183], v[130:131], s[50:51]
	v_add_f64 v[140:141], v[148:149], -v[236:237]
	v_fma_f64 v[148:149], v[116:117], s[20:21], v[144:145]
	v_add_f64 v[82:83], v[150:151], v[134:135]
	v_fma_f64 v[92:93], v[116:117], s[10:11], v[92:93]
	v_add_f64 v[8:9], v[94:95], v[8:9]
	v_fma_f64 v[94:95], v[120:121], s[6:7], -v[86:87]
	v_add_f64 v[10:11], v[90:91], v[10:11]
	v_add_f64 v[12:13], v[22:23], v[12:13]
	v_fma_f64 v[88:89], v[120:121], s[22:23], -v[142:143]
	v_add_f64 v[14:15], v[84:85], v[14:15]
	v_add_f64 v[168:169], v[168:169], v[172:173]
	v_add_f64 v[172:173], v[178:179], -v[184:185]
	v_fma_f64 v[190:191], v[120:121], s[2:3], v[182:183]
	v_fma_f64 v[182:183], v[120:121], s[2:3], -v[182:183]
	v_add_f64 v[242:243], v[250:251], v[242:243]
	v_fma_f64 v[250:251], v[120:121], s[12:13], v[192:193]
	v_fma_f64 v[84:85], v[120:121], s[22:23], v[142:143]
	v_add_f64 v[82:83], v[148:149], v[82:83]
	v_fma_f64 v[86:87], v[120:121], s[6:7], v[86:87]
	v_add_f64 v[8:9], v[92:93], v[8:9]
	v_add_f64 v[10:11], v[94:95], v[10:11]
	;; [unrolled: 1-line block ×11, first 2 shown]
	v_mul_u32_u24_e32 v84, 0x88, v102
	v_add3_u32 v84, 0, v84, v103
	v_add_f64 v[8:9], v[86:87], v[8:9]
	ds_write2_b64 v84, v[12:13], v[10:11] offset1:1
	ds_write2_b64 v84, v[14:15], v[0:1] offset0:2 offset1:3
	ds_write2_b64 v84, v[88:89], v[114:115] offset0:4 offset1:5
	;; [unrolled: 1-line block ×7, first 2 shown]
	ds_write_b64 v84, v[8:9] offset:128
.LBB0_12:
	s_or_b64 exec, exec, s[58:59]
	v_add_f64 v[158:159], v[54:55], -v[26:27]
	v_add_f64 v[156:157], v[28:29], v[56:57]
	v_add_f64 v[148:149], v[58:59], -v[22:23]
	v_add_f64 v[138:139], v[24:25], v[60:61]
	;; [unrolled: 2-line block ×4, first 2 shown]
	v_mul_f64 v[162:163], v[158:159], s[40:41]
	v_mul_f64 v[164:165], v[158:159], s[18:19]
	;; [unrolled: 1-line block ×8, first 2 shown]
	v_fma_f64 v[0:1], v[156:157], s[20:21], -v[162:163]
	v_fma_f64 v[8:9], v[156:157], s[2:3], -v[164:165]
	v_mul_f64 v[152:153], v[136:137], s[56:57]
	v_fma_f64 v[10:11], v[156:157], s[12:13], -v[166:167]
	v_fma_f64 v[12:13], v[156:157], s[28:29], -v[168:169]
	;; [unrolled: 1-line block ×3, first 2 shown]
	v_mul_f64 v[150:151], v[136:137], s[38:39]
	v_fma_f64 v[18:19], v[138:139], s[6:7], -v[172:173]
	v_add_f64 v[0:1], v[16:17], v[0:1]
	v_add_f64 v[8:9], v[16:17], v[8:9]
	v_fma_f64 v[22:23], v[138:139], s[10:11], -v[174:175]
	v_fma_f64 v[26:27], v[138:139], s[12:13], -v[160:161]
	v_fma_f64 v[30:31], v[128:129], s[6:7], -v[152:153]
	v_add_f64 v[10:11], v[16:17], v[10:11]
	v_add_f64 v[12:13], v[16:17], v[12:13]
	v_mul_f64 v[154:155], v[136:137], s[26:27]
	v_add_f64 v[0:1], v[14:15], v[0:1]
	v_mul_f64 v[146:147], v[136:137], s[30:31]
	v_mul_f64 v[134:135], v[120:121], s[38:39]
	v_add_f64 v[112:113], v[70:71], -v[34:35]
	v_fma_f64 v[54:55], v[128:129], s[12:13], -v[150:151]
	v_add_f64 v[8:9], v[18:19], v[8:9]
	v_add_f64 v[10:11], v[22:23], v[10:11]
	;; [unrolled: 1-line block ×4, first 2 shown]
	v_fma_f64 v[14:15], v[128:129], s[16:17], -v[154:155]
	v_fma_f64 v[18:19], v[128:129], s[22:23], -v[146:147]
	;; [unrolled: 1-line block ×3, first 2 shown]
	v_mul_f64 v[140:141], v[120:121], s[42:43]
	v_mul_f64 v[142:143], v[120:121], s[40:41]
	;; [unrolled: 1-line block ×3, first 2 shown]
	v_add_f64 v[74:75], v[36:37], v[72:73]
	v_mul_f64 v[122:123], v[112:113], s[26:27]
	v_add_f64 v[58:59], v[62:63], -v[38:39]
	v_add_f64 v[8:9], v[54:55], v[8:9]
	v_add_f64 v[10:11], v[14:15], v[10:11]
	;; [unrolled: 1-line block ×4, first 2 shown]
	v_fma_f64 v[14:15], v[126:127], s[22:23], -v[140:141]
	v_fma_f64 v[18:19], v[126:127], s[20:21], -v[142:143]
	;; [unrolled: 1-line block ×4, first 2 shown]
	v_mul_f64 v[132:133], v[112:113], s[40:41]
	v_mul_f64 v[130:131], v[112:113], s[24:25]
	;; [unrolled: 1-line block ×3, first 2 shown]
	v_add_f64 v[54:55], v[40:41], v[64:65]
	v_mul_f64 v[114:115], v[58:59], s[30:31]
	v_add_f64 v[8:9], v[14:15], v[8:9]
	v_add_f64 v[10:11], v[18:19], v[10:11]
	;; [unrolled: 1-line block ×3, first 2 shown]
	v_fma_f64 v[14:15], v[74:75], s[20:21], -v[132:133]
	v_add_f64 v[0:1], v[26:27], v[0:1]
	v_fma_f64 v[18:19], v[74:75], s[6:7], -v[130:131]
	v_fma_f64 v[22:23], v[74:75], s[2:3], -v[124:125]
	v_fma_f64 v[26:27], v[54:55], s[22:23], -v[114:115]
	v_mul_f64 v[118:119], v[58:59], s[46:47]
	v_mul_f64 v[116:117], v[58:59], s[50:51]
	;; [unrolled: 1-line block ×3, first 2 shown]
	v_add_f64 v[42:43], v[42:43], -v[46:47]
	v_add_f64 v[8:9], v[14:15], v[8:9]
	v_add_f64 v[10:11], v[18:19], v[10:11]
	;; [unrolled: 1-line block ×4, first 2 shown]
	v_fma_f64 v[14:15], v[54:55], s[10:11], -v[118:119]
	v_fma_f64 v[22:23], v[54:55], s[2:3], -v[116:117]
	;; [unrolled: 1-line block ×3, first 2 shown]
	v_add_f64 v[38:39], v[48:49], v[44:45]
	v_mul_f64 v[62:63], v[42:43], s[18:19]
	v_mul_f64 v[66:67], v[42:43], s[48:49]
	;; [unrolled: 1-line block ×4, first 2 shown]
	v_add_f64 v[18:19], v[78:79], -v[50:51]
	v_add_f64 v[14:15], v[14:15], v[8:9]
	v_add_f64 v[10:11], v[22:23], v[10:11]
	;; [unrolled: 1-line block ×3, first 2 shown]
	v_fma_f64 v[50:51], v[38:39], s[2:3], -v[62:63]
	v_fma_f64 v[78:79], v[38:39], s[28:29], -v[66:67]
	;; [unrolled: 1-line block ×4, first 2 shown]
	v_add_f64 v[8:9], v[52:53], v[80:81]
	v_mul_f64 v[22:23], v[18:19], s[46:47]
	v_mul_f64 v[30:31], v[18:19], s[44:45]
	v_mul_f64 v[34:35], v[18:19], s[52:53]
	v_mul_f64 v[26:27], v[18:19], s[26:27]
	v_add_f64 v[0:1], v[50:51], v[0:1]
	v_add_f64 v[14:15], v[78:79], v[14:15]
	;; [unrolled: 1-line block ×4, first 2 shown]
	v_fma_f64 v[12:13], v[8:9], s[10:11], -v[22:23]
	v_fma_f64 v[84:85], v[8:9], s[28:29], -v[30:31]
	;; [unrolled: 1-line block ×4, first 2 shown]
	s_waitcnt lgkmcnt(0)
	s_barrier
	v_add_f64 v[50:51], v[12:13], v[0:1]
	v_add_f64 v[12:13], v[84:85], v[10:11]
	;; [unrolled: 1-line block ×3, first 2 shown]
	v_lshlrev_b32_e32 v78, 3, v102
	v_add_f64 v[14:15], v[82:83], v[14:15]
	v_add_u32_e32 v180, 0, v78
	v_add3_u32 v79, 0, v103, v78
	v_add_u32_e32 v78, v180, v103
	v_add_u32_e32 v178, 0x400, v78
	;; [unrolled: 1-line block ×5, first 2 shown]
	ds_read_b64 v[0:1], v79
	ds_read2_b64 v[98:101], v78 offset0:85 offset1:170
	ds_read2_b64 v[94:97], v178 offset0:127 offset1:212
	;; [unrolled: 1-line block ×5, first 2 shown]
	s_waitcnt lgkmcnt(0)
	s_barrier
	s_and_saveexec_b64 s[18:19], s[0:1]
	s_cbranch_execz .LBB0_14
; %bb.13:
	v_add_f64 v[56:57], v[56:57], v[16:17]
	v_mul_f64 v[181:182], v[156:157], s[20:21]
	v_mul_f64 v[183:184], v[156:157], s[2:3]
	;; [unrolled: 1-line block ×3, first 2 shown]
	s_mov_b32 s26, 0x5d8e7cdc
	s_mov_b32 s27, 0xbfd71e95
	v_mul_f64 v[195:196], v[138:139], s[12:13]
	v_mul_f64 v[209:210], v[126:127], s[20:21]
	v_add_f64 v[56:57], v[60:61], v[56:57]
	v_mul_f64 v[215:216], v[74:75], s[20:21]
	s_mov_b32 s24, 0x4363dd80
	v_mul_f64 v[199:200], v[128:129], s[12:13]
	v_mul_f64 v[205:206], v[126:127], s[12:13]
	s_mov_b32 s13, 0xbfe58eea
	s_mov_b32 s12, 0x2a9d6da3
	;; [unrolled: 1-line block ×3, first 2 shown]
	v_add_f64 v[56:57], v[68:69], v[56:57]
	v_mul_f64 v[187:188], v[156:157], s[28:29]
	v_mul_f64 v[189:190], v[138:139], s[28:29]
	;; [unrolled: 1-line block ×4, first 2 shown]
	s_mov_b32 s0, 0x370991
	s_mov_b32 s1, 0x3fedd6d0
	v_mul_f64 v[201:202], v[128:129], s[16:17]
	v_add_f64 v[56:57], v[76:77], v[56:57]
	v_mul_f64 v[203:204], v[128:129], s[22:23]
	v_mul_f64 v[207:208], v[126:127], s[22:23]
	;; [unrolled: 1-line block ×7, first 2 shown]
	v_add_f64 v[233:234], v[72:73], v[56:57]
	v_mul_f64 v[72:73], v[8:9], s[20:21]
	s_mov_b32 s20, 0xacd6c6b4
	s_mov_b32 s21, 0xbfc7851a
	v_mul_f64 v[231:232], v[38:39], s[22:23]
	v_mul_f64 v[56:57], v[8:9], s[10:11]
	;; [unrolled: 1-line block ×3, first 2 shown]
	s_mov_b32 s10, 0x75d4884
	v_add_f64 v[64:65], v[64:65], v[233:234]
	s_mov_b32 s22, 0x910ea3b9
	s_mov_b32 s16, 0x7faef3
	v_mul_f64 v[233:234], v[148:149], s[12:13]
	s_mov_b32 s11, 0x3fe7a5f6
	s_mov_b32 s23, 0xbfeb34fa
	;; [unrolled: 1-line block ×4, first 2 shown]
	v_add_f64 v[44:45], v[44:45], v[64:65]
	v_mul_f64 v[64:65], v[158:159], s[12:13]
	s_mov_b32 s34, s26
	s_mov_b32 s30, 0x7c9e640b
	v_mul_f64 v[197:198], v[128:129], s[6:7]
	v_mul_f64 v[217:218], v[74:75], s[6:7]
	;; [unrolled: 1-line block ×3, first 2 shown]
	s_mov_b32 s7, 0xbfefdd0d
	v_add_f64 v[44:45], v[80:81], v[44:45]
	v_mul_f64 v[80:81], v[158:159], s[24:25]
	s_mov_b32 s6, 0xeb564b22
	s_mov_b32 s31, 0x3feca52d
	;; [unrolled: 1-line block ×4, first 2 shown]
	v_mul_f64 v[237:238], v[148:149], s[6:7]
	v_mul_f64 v[239:240], v[148:149], s[30:31]
	v_add_f64 v[44:45], v[52:53], v[44:45]
	v_mul_f64 v[52:53], v[158:159], s[26:27]
	v_mul_f64 v[158:159], v[158:159], s[20:21]
	;; [unrolled: 1-line block ×4, first 2 shown]
	s_mov_b32 s28, 0x2b2883cd
	s_mov_b32 s29, 0x3fdc86fa
	;; [unrolled: 1-line block ×3, first 2 shown]
	v_add_f64 v[44:45], v[48:49], v[44:45]
	v_add_f64 v[48:49], v[181:182], v[162:163]
	;; [unrolled: 1-line block ×10, first 2 shown]
	v_fma_f64 v[160:161], v[156:157], s[0:1], v[52:53]
	v_fma_f64 v[52:53], v[156:157], s[0:1], -v[52:53]
	v_fma_f64 v[174:175], v[156:157], s[10:11], v[64:65]
	v_fma_f64 v[64:65], v[156:157], s[10:11], -v[64:65]
	;; [unrolled: 2-line block ×3, first 2 shown]
	v_add_f64 v[36:37], v[36:37], v[40:41]
	v_fma_f64 v[40:41], v[156:157], s[16:17], v[158:159]
	v_fma_f64 v[156:157], v[156:157], s[16:17], -v[158:159]
	v_add_f64 v[164:165], v[16:17], v[164:165]
	v_fma_f64 v[183:184], v[138:139], s[10:11], -v[233:234]
	v_add_f64 v[52:53], v[16:17], v[52:53]
	v_add_f64 v[48:49], v[16:17], v[48:49]
	;; [unrolled: 1-line block ×9, first 2 shown]
	v_fma_f64 v[158:159], v[138:139], s[10:11], v[233:234]
	v_fma_f64 v[185:186], v[138:139], s[2:3], v[237:238]
	v_add_f64 v[20:21], v[20:21], v[32:33]
	v_add_f64 v[32:33], v[16:17], v[174:175]
	;; [unrolled: 1-line block ×5, first 2 shown]
	v_fma_f64 v[187:188], v[138:139], s[2:3], -v[237:238]
	v_fma_f64 v[189:190], v[138:139], s[28:29], v[239:240]
	v_fma_f64 v[36:37], v[138:139], s[28:29], -v[239:240]
	v_add_f64 v[20:21], v[24:25], v[20:21]
	v_add_f64 v[52:53], v[183:184], v[52:53]
	s_mov_b32 s43, 0xbfe9895b
	v_add_f64 v[48:49], v[168:169], v[48:49]
	v_add_f64 v[24:25], v[170:171], v[162:163]
	v_mul_f64 v[162:163], v[136:137], s[42:43]
	s_mov_b32 s40, 0x6ed5f1bb
	v_add_f64 v[150:151], v[199:200], v[150:151]
	v_add_f64 v[20:21], v[28:29], v[20:21]
	v_mul_f64 v[28:29], v[148:149], s[34:35]
	v_mul_f64 v[148:149], v[136:137], s[36:37]
	s_mov_b32 s41, 0xbfe348c8
	v_add_f64 v[158:159], v[158:159], v[160:161]
	v_add_f64 v[32:33], v[185:186], v[32:33]
	;; [unrolled: 1-line block ×5, first 2 shown]
	v_fma_f64 v[164:165], v[138:139], s[0:1], v[28:29]
	v_fma_f64 v[28:29], v[138:139], s[0:1], -v[28:29]
	v_fma_f64 v[138:139], v[128:129], s[28:29], -v[148:149]
	v_fma_f64 v[80:81], v[128:129], s[28:29], v[148:149]
	v_fma_f64 v[148:149], v[128:129], s[40:41], v[162:163]
	v_fma_f64 v[162:163], v[128:129], s[40:41], -v[162:163]
	s_mov_b32 s37, 0x3fe9895b
	s_mov_b32 s36, s42
	;; [unrolled: 1-line block ×3, first 2 shown]
	v_add_f64 v[16:17], v[28:29], v[16:17]
	v_add_f64 v[28:29], v[197:198], v[152:153]
	;; [unrolled: 1-line block ×3, first 2 shown]
	v_mul_f64 v[138:139], v[136:137], s[6:7]
	v_mul_f64 v[152:153], v[120:121], s[20:21]
	v_add_f64 v[80:81], v[80:81], v[158:159]
	v_add_f64 v[32:33], v[148:149], v[32:33]
	v_add_f64 v[148:149], v[201:202], v[154:155]
	v_add_f64 v[64:65], v[162:163], v[64:65]
	v_add_f64 v[28:29], v[28:29], v[48:49]
	v_mul_f64 v[48:49], v[136:137], s[24:25]
	v_mul_f64 v[136:137], v[120:121], s[6:7]
	v_fma_f64 v[150:151], v[128:129], s[2:3], v[138:139]
	v_fma_f64 v[138:139], v[128:129], s[2:3], -v[138:139]
	s_mov_b32 s38, 0x923c349f
	v_add_f64 v[148:149], v[148:149], v[156:157]
	s_mov_b32 s39, 0xbfeec746
	v_add_f64 v[134:135], v[205:206], v[134:135]
	v_fma_f64 v[154:155], v[128:129], s[22:23], v[48:49]
	v_fma_f64 v[48:49], v[128:129], s[22:23], -v[48:49]
	v_fma_f64 v[128:129], v[126:127], s[2:3], v[136:137]
	v_fma_f64 v[136:137], v[126:127], s[2:3], -v[136:137]
	v_add_f64 v[36:37], v[138:139], v[36:37]
	v_fma_f64 v[138:139], v[126:127], s[16:17], v[152:153]
	v_mul_f64 v[219:220], v[74:75], s[2:3]
	v_add_f64 v[44:45], v[44:45], v[166:167]
	v_add_f64 v[40:41], v[164:165], v[40:41]
	;; [unrolled: 1-line block ×4, first 2 shown]
	v_mul_f64 v[80:81], v[120:121], s[36:37]
	v_add_f64 v[52:53], v[136:137], v[52:53]
	v_add_f64 v[136:137], v[207:208], v[140:141]
	v_mul_f64 v[120:121], v[120:121], s[12:13]
	v_add_f64 v[32:33], v[138:139], v[32:33]
	v_fma_f64 v[128:129], v[126:127], s[16:17], -v[152:153]
	v_add_f64 v[138:139], v[209:210], v[142:143]
	s_mov_b32 s37, 0x3fe0d888
	v_fma_f64 v[142:143], v[126:127], s[40:41], v[80:81]
	v_fma_f64 v[80:81], v[126:127], s[40:41], -v[80:81]
	v_add_f64 v[24:25], v[136:137], v[24:25]
	v_fma_f64 v[136:137], v[126:127], s[10:11], v[120:121]
	v_fma_f64 v[120:121], v[126:127], s[10:11], -v[120:121]
	v_mul_f64 v[126:127], v[112:113], s[38:39]
	s_mov_b32 s36, s24
	v_add_f64 v[64:65], v[128:129], v[64:65]
	v_add_f64 v[128:129], v[138:139], v[148:149]
	v_mul_f64 v[138:139], v[112:113], s[36:37]
	s_mov_b32 s36, 0xc61f0d01
	s_mov_b32 s37, 0xbfd183b1
	v_add_f64 v[36:37], v[80:81], v[36:37]
	v_fma_f64 v[80:81], v[74:75], s[36:37], v[126:127]
	v_add_f64 v[146:147], v[203:204], v[146:147]
	v_add_f64 v[28:29], v[134:135], v[28:29]
	v_fma_f64 v[126:127], v[74:75], s[36:37], -v[126:127]
	v_add_f64 v[122:123], v[213:214], v[122:123]
	v_add_f64 v[160:161], v[189:190], v[174:175]
	;; [unrolled: 1-line block ×5, first 2 shown]
	v_mul_f64 v[80:81], v[112:113], s[26:27]
	v_add_f64 v[44:45], v[146:147], v[44:45]
	v_add_f64 v[16:17], v[120:121], v[16:17]
	v_fma_f64 v[120:121], v[74:75], s[22:23], v[138:139]
	v_add_f64 v[130:131], v[217:218], v[130:131]
	v_add_f64 v[52:53], v[126:127], v[52:53]
	;; [unrolled: 1-line block ×3, first 2 shown]
	v_mul_f64 v[112:113], v[112:113], s[42:43]
	v_add_f64 v[122:123], v[219:220], v[124:125]
	v_fma_f64 v[124:125], v[74:75], s[0:1], v[80:81]
	v_fma_f64 v[80:81], v[74:75], s[0:1], -v[80:81]
	v_mul_f64 v[126:127], v[58:59], s[42:43]
	s_mov_b32 s27, 0x3feec746
	s_mov_b32 s26, s38
	v_add_f64 v[146:147], v[150:151], v[160:161]
	v_add_f64 v[44:45], v[140:141], v[44:45]
	;; [unrolled: 1-line block ×3, first 2 shown]
	v_fma_f64 v[136:137], v[74:75], s[22:23], -v[138:139]
	v_add_f64 v[32:33], v[120:121], v[32:33]
	v_add_f64 v[120:121], v[130:131], v[128:129]
	v_mul_f64 v[128:129], v[58:59], s[26:27]
	v_fma_f64 v[130:131], v[74:75], s[40:41], v[112:113]
	v_fma_f64 v[74:75], v[74:75], s[40:41], -v[112:113]
	v_add_f64 v[36:37], v[80:81], v[36:37]
	v_fma_f64 v[80:81], v[54:55], s[40:41], -v[126:127]
	v_add_f64 v[76:77], v[76:77], v[114:115]
	v_mul_f64 v[223:224], v[54:55], s[2:3]
	v_add_f64 v[134:135], v[142:143], v[146:147]
	v_add_f64 v[132:133], v[215:216], v[132:133]
	v_add_f64 v[64:65], v[136:137], v[64:65]
	v_add_f64 v[44:45], v[122:123], v[44:45]
	v_fma_f64 v[122:123], v[54:55], s[40:41], v[126:127]
	v_add_f64 v[16:17], v[74:75], v[16:17]
	v_fma_f64 v[74:75], v[54:55], s[36:37], -v[128:129]
	v_add_f64 v[52:53], v[80:81], v[52:53]
	v_mul_f64 v[80:81], v[58:59], s[20:21]
	v_add_f64 v[28:29], v[76:77], v[28:29]
	v_mul_f64 v[58:59], v[58:59], s[30:31]
	v_mul_f64 v[76:77], v[42:43], s[24:25]
	;; [unrolled: 1-line block ×3, first 2 shown]
	v_add_f64 v[24:25], v[132:133], v[24:25]
	v_add_f64 v[112:113], v[124:125], v[134:135]
	v_fma_f64 v[124:125], v[54:55], s[36:37], v[128:129]
	v_add_f64 v[48:49], v[122:123], v[48:49]
	v_add_f64 v[114:115], v[221:222], v[118:119]
	;; [unrolled: 1-line block ×5, first 2 shown]
	v_fma_f64 v[110:111], v[54:55], s[16:17], v[80:81]
	v_fma_f64 v[80:81], v[54:55], s[16:17], -v[80:81]
	v_fma_f64 v[118:119], v[54:55], s[28:29], v[58:59]
	v_fma_f64 v[54:55], v[54:55], s[28:29], -v[58:59]
	v_fma_f64 v[58:59], v[38:39], s[22:23], v[76:77]
	v_add_f64 v[24:25], v[114:115], v[24:25]
	v_add_f64 v[114:115], v[116:117], v[120:121]
	v_mul_f64 v[116:117], v[42:43], s[30:31]
	v_add_f64 v[44:45], v[74:75], v[44:45]
	v_fma_f64 v[76:77], v[38:39], s[22:23], -v[76:77]
	v_add_f64 v[46:47], v[235:236], v[46:47]
	v_add_f64 v[16:17], v[54:55], v[16:17]
	;; [unrolled: 1-line block ×5, first 2 shown]
	v_fma_f64 v[54:55], v[38:39], s[28:29], -v[116:117]
	v_add_f64 v[66:67], v[231:232], v[70:71]
	v_mul_f64 v[70:71], v[42:43], s[12:13]
	v_mul_f64 v[42:43], v[42:43], s[38:39]
	v_add_f64 v[36:37], v[80:81], v[36:37]
	v_fma_f64 v[80:81], v[38:39], s[28:29], v[116:117]
	v_add_f64 v[28:29], v[58:59], v[28:29]
	v_mul_f64 v[58:59], v[18:19], s[20:21]
	v_add_f64 v[52:53], v[76:77], v[52:53]
	v_add_f64 v[54:55], v[54:55], v[64:65]
	;; [unrolled: 1-line block ×4, first 2 shown]
	v_fma_f64 v[64:65], v[38:39], s[10:11], v[70:71]
	v_fma_f64 v[66:67], v[38:39], s[10:11], -v[70:71]
	v_fma_f64 v[70:71], v[38:39], s[36:37], v[42:43]
	v_add_f64 v[44:45], v[46:47], v[44:45]
	v_fma_f64 v[38:39], v[38:39], s[36:37], -v[42:43]
	v_fma_f64 v[42:43], v[8:9], s[16:17], v[58:59]
	v_fma_f64 v[46:47], v[8:9], s[16:17], -v[58:59]
	v_add_f64 v[40:41], v[130:131], v[40:41]
	v_mul_f64 v[76:77], v[18:19], s[34:35]
	v_add_f64 v[32:33], v[124:125], v[32:33]
	v_add_f64 v[74:75], v[110:111], v[112:113]
	s_mov_b32 s7, 0x3fefdd0d
	v_add_f64 v[16:17], v[38:39], v[16:17]
	v_add_f64 v[38:39], v[42:43], v[48:49]
	;; [unrolled: 1-line block ×3, first 2 shown]
	v_mul_f64 v[46:47], v[18:19], s[38:39]
	v_add_f64 v[40:41], v[118:119], v[40:41]
	v_add_f64 v[36:37], v[66:67], v[36:37]
	v_fma_f64 v[66:67], v[8:9], s[0:1], -v[76:77]
	v_mul_f64 v[18:19], v[18:19], s[6:7]
	v_add_f64 v[32:33], v[80:81], v[32:33]
	v_add_f64 v[58:59], v[64:65], v[74:75]
	v_fma_f64 v[64:65], v[8:9], s[0:1], v[76:77]
	v_add_f64 v[22:23], v[56:57], v[22:23]
	v_add_f64 v[26:27], v[60:61], v[26:27]
	;; [unrolled: 1-line block ×4, first 2 shown]
	v_fma_f64 v[52:53], v[8:9], s[36:37], v[46:47]
	v_add_f64 v[40:41], v[70:71], v[40:41]
	v_add_f64 v[48:49], v[66:67], v[54:55]
	v_fma_f64 v[54:55], v[8:9], s[2:3], v[18:19]
	v_fma_f64 v[18:19], v[8:9], s[2:3], -v[18:19]
	v_fma_f64 v[8:9], v[8:9], s[36:37], -v[46:47]
	v_add_f64 v[32:33], v[64:65], v[32:33]
	v_add_f64 v[22:23], v[22:23], v[28:29]
	;; [unrolled: 1-line block ×9, first 2 shown]
	v_lshlrev_b32_e32 v18, 7, v102
	v_add3_u32 v18, v180, v18, v103
	ds_write2_b64 v18, v[20:21], v[38:39] offset1:1
	ds_write2_b64 v18, v[32:33], v[22:23] offset0:2 offset1:3
	ds_write2_b64 v18, v[24:25], v[26:27] offset0:4 offset1:5
	;; [unrolled: 1-line block ×7, first 2 shown]
	ds_write_b64 v18, v[42:43] offset:128
.LBB0_14:
	s_or_b64 exec, exec, s[18:19]
	s_movk_i32 s0, 0xf1
	v_mul_lo_u16_sdwa v8, v102, s0 dst_sel:DWORD dst_unused:UNUSED_PAD src0_sel:BYTE_0 src1_sel:DWORD
	v_lshrrev_b16_e32 v16, 12, v8
	v_mul_lo_u16_e32 v8, 17, v16
	v_sub_u16_e32 v17, v102, v8
	v_mov_b32_e32 v8, 10
	v_mul_u32_u24_sdwa v8, v17, v8 dst_sel:DWORD dst_unused:UNUSED_PAD src0_sel:BYTE_0 src1_sel:DWORD
	v_lshlrev_b32_e32 v8, 4, v8
	s_load_dwordx2 s[2:3], s[4:5], 0x0
	s_waitcnt lgkmcnt(0)
	s_barrier
	global_load_dwordx4 v[18:21], v8, s[8:9]
	global_load_dwordx4 v[22:25], v8, s[8:9] offset:16
	global_load_dwordx4 v[26:29], v8, s[8:9] offset:32
	;; [unrolled: 1-line block ×9, first 2 shown]
	ds_read_b64 v[8:9], v79
	ds_read2_b64 v[38:41], v78 offset0:85 offset1:170
	ds_read2_b64 v[110:113], v178 offset0:127 offset1:212
	;; [unrolled: 1-line block ×5, first 2 shown]
	s_mov_b32 s20, 0xf8bb580b
	s_mov_b32 s34, 0x8eee2c13
	;; [unrolled: 1-line block ×28, first 2 shown]
	s_movk_i32 s0, 0x5d8
	v_mad_u32_u24 v16, v16, s0, 0
	s_waitcnt vmcnt(0) lgkmcnt(0)
	s_barrier
	v_cmp_gt_u32_e64 s[0:1], 17, v102
	v_mul_f64 v[42:43], v[38:39], v[20:21]
	v_mul_f64 v[20:21], v[98:99], v[20:21]
	;; [unrolled: 1-line block ×12, first 2 shown]
	v_fma_f64 v[74:75], v[38:39], v[18:19], v[20:21]
	v_fma_f64 v[64:65], v[94:95], v[26:27], -v[52:53]
	v_mul_f64 v[28:29], v[94:95], v[28:29]
	v_mul_f64 v[32:33], v[96:97], v[32:33]
	;; [unrolled: 1-line block ×3, first 2 shown]
	v_fma_f64 v[52:53], v[124:125], v[70:71], v[142:143]
	v_mul_f64 v[126:127], v[90:91], v[36:37]
	v_mul_f64 v[128:129], v[116:117], v[46:47]
	;; [unrolled: 1-line block ×5, first 2 shown]
	v_fma_f64 v[72:73], v[98:99], v[18:19], -v[42:43]
	v_fma_f64 v[62:63], v[40:41], v[22:23], v[24:25]
	v_fma_f64 v[42:43], v[96:97], v[30:31], -v[76:77]
	v_fma_f64 v[76:77], v[88:89], v[70:71], -v[140:141]
	;; [unrolled: 1-line block ×3, first 2 shown]
	v_fma_f64 v[56:57], v[122:123], v[66:67], v[138:139]
	v_add_f64 v[20:21], v[74:75], -v[52:53]
	v_fma_f64 v[68:69], v[100:101], v[22:23], -v[48:49]
	v_fma_f64 v[60:61], v[110:111], v[26:27], v[28:29]
	v_fma_f64 v[40:41], v[112:113], v[30:31], v[32:33]
	v_fma_f64 v[36:37], v[90:91], v[34:35], -v[80:81]
	v_fma_f64 v[32:33], v[114:115], v[34:35], v[126:127]
	v_fma_f64 v[38:39], v[92:93], v[44:45], -v[128:129]
	;; [unrolled: 2-line block ×3, first 2 shown]
	v_fma_f64 v[66:67], v[84:85], v[58:59], -v[134:135]
	v_fma_f64 v[58:59], v[120:121], v[58:59], v[136:137]
	v_fma_f64 v[46:47], v[118:119], v[54:55], v[132:133]
	v_add_f64 v[22:23], v[72:73], v[76:77]
	v_add_f64 v[26:27], v[62:63], -v[56:57]
	v_mul_f64 v[54:55], v[20:21], s[20:21]
	v_mul_f64 v[80:81], v[20:21], s[34:35]
	v_add_f64 v[18:19], v[0:1], v[72:73]
	v_add_f64 v[24:25], v[68:69], v[70:71]
	v_add_f64 v[30:31], v[60:61], -v[58:59]
	v_mul_f64 v[82:83], v[20:21], s[12:13]
	v_mul_f64 v[84:85], v[20:21], s[18:19]
	;; [unrolled: 1-line block ×5, first 2 shown]
	v_fma_f64 v[110:111], v[22:23], s[4:5], -v[54:55]
	v_fma_f64 v[54:55], v[22:23], s[4:5], v[54:55]
	v_fma_f64 v[112:113], v[22:23], s[6:7], -v[80:81]
	v_fma_f64 v[80:81], v[22:23], s[6:7], v[80:81]
	v_add_f64 v[18:19], v[18:19], v[68:69]
	v_add_f64 v[28:29], v[64:65], v[66:67]
	v_mul_f64 v[90:91], v[26:27], s[36:37]
	v_mul_f64 v[92:93], v[26:27], s[30:31]
	;; [unrolled: 1-line block ×5, first 2 shown]
	v_fma_f64 v[114:115], v[22:23], s[10:11], -v[82:83]
	v_fma_f64 v[82:83], v[22:23], s[10:11], v[82:83]
	v_fma_f64 v[116:117], v[22:23], s[16:17], -v[84:85]
	v_fma_f64 v[84:85], v[22:23], s[16:17], v[84:85]
	;; [unrolled: 2-line block ×5, first 2 shown]
	v_add_f64 v[110:111], v[0:1], v[110:111]
	v_add_f64 v[54:55], v[0:1], v[54:55]
	;; [unrolled: 1-line block ×5, first 2 shown]
	v_add_f64 v[48:49], v[40:41], -v[46:47]
	v_mul_f64 v[98:99], v[30:31], s[28:29]
	v_mul_f64 v[100:101], v[30:31], s[20:21]
	v_fma_f64 v[122:123], v[24:25], s[22:23], -v[90:91]
	v_fma_f64 v[90:91], v[24:25], s[22:23], v[90:91]
	v_fma_f64 v[124:125], v[24:25], s[10:11], -v[92:93]
	v_fma_f64 v[92:93], v[24:25], s[10:11], v[92:93]
	;; [unrolled: 2-line block ×5, first 2 shown]
	v_add_f64 v[114:115], v[0:1], v[114:115]
	v_add_f64 v[82:83], v[0:1], v[82:83]
	;; [unrolled: 1-line block ×19, first 2 shown]
	v_mul_f64 v[30:31], v[30:31], s[18:19]
	v_fma_f64 v[54:55], v[28:29], s[6:7], v[98:99]
	v_add_f64 v[80:81], v[42:43], v[44:45]
	v_mul_f64 v[92:93], v[48:49], s[18:19]
	v_fma_f64 v[94:95], v[28:29], s[4:5], -v[100:101]
	v_add_f64 v[18:19], v[18:19], v[36:37]
	v_fma_f64 v[130:131], v[28:29], s[6:7], -v[98:99]
	v_fma_f64 v[96:97], v[28:29], s[4:5], v[100:101]
	v_mul_f64 v[98:99], v[48:49], s[30:31]
	v_fma_f64 v[100:101], v[28:29], s[16:17], -v[30:31]
	v_add_f64 v[54:55], v[54:55], v[82:83]
	v_fma_f64 v[28:29], v[28:29], s[16:17], v[30:31]
	v_fma_f64 v[30:31], v[80:81], s[16:17], -v[92:93]
	v_add_f64 v[82:83], v[94:95], v[88:89]
	v_fma_f64 v[88:89], v[80:81], s[16:17], v[92:93]
	v_add_f64 v[18:19], v[18:19], v[38:39]
	v_add_f64 v[86:87], v[122:123], v[114:115]
	;; [unrolled: 1-line block ×3, first 2 shown]
	v_fma_f64 v[92:93], v[80:81], s[10:11], -v[98:99]
	v_mul_f64 v[94:95], v[48:49], s[20:21]
	v_add_f64 v[0:1], v[28:29], v[0:1]
	v_add_f64 v[20:21], v[30:31], v[20:21]
	v_mul_f64 v[28:29], v[48:49], s[24:25]
	v_add_f64 v[22:23], v[88:89], v[22:23]
	v_add_f64 v[30:31], v[32:33], -v[34:35]
	v_fma_f64 v[88:89], v[80:81], s[10:11], v[98:99]
	v_mul_f64 v[48:49], v[48:49], s[28:29]
	v_add_f64 v[18:19], v[18:19], v[44:45]
	v_add_f64 v[86:87], v[130:131], v[86:87]
	;; [unrolled: 1-line block ×5, first 2 shown]
	v_fma_f64 v[92:93], v[80:81], s[4:5], -v[94:95]
	v_fma_f64 v[96:97], v[80:81], s[22:23], -v[28:29]
	v_add_f64 v[98:99], v[36:37], v[38:39]
	v_mul_f64 v[100:101], v[30:31], s[24:25]
	v_fma_f64 v[28:29], v[80:81], s[22:23], v[28:29]
	v_add_f64 v[26:27], v[88:89], v[26:27]
	v_fma_f64 v[88:89], v[80:81], s[6:7], -v[48:49]
	v_fma_f64 v[94:95], v[80:81], s[4:5], v[94:95]
	v_add_f64 v[18:19], v[18:19], v[66:67]
	v_add_f64 v[86:87], v[92:93], v[86:87]
	v_fma_f64 v[48:49], v[80:81], s[6:7], v[48:49]
	v_add_f64 v[80:81], v[96:97], v[82:83]
	v_fma_f64 v[82:83], v[98:99], s[22:23], -v[100:101]
	v_add_f64 v[28:29], v[28:29], v[84:85]
	v_fma_f64 v[84:85], v[98:99], s[22:23], v[100:101]
	v_mul_f64 v[92:93], v[30:31], s[26:27]
	v_add_f64 v[88:89], v[88:89], v[90:91]
	v_mul_f64 v[90:91], v[30:31], s[18:19]
	v_add_f64 v[54:55], v[94:95], v[54:55]
	v_mul_f64 v[94:95], v[30:31], s[28:29]
	v_mul_f64 v[30:31], v[30:31], s[12:13]
	v_add_f64 v[18:19], v[18:19], v[70:71]
	v_add_f64 v[48:49], v[48:49], v[0:1]
	;; [unrolled: 1-line block ×4, first 2 shown]
	v_fma_f64 v[22:23], v[98:99], s[4:5], -v[92:93]
	v_fma_f64 v[82:83], v[98:99], s[4:5], v[92:93]
	v_fma_f64 v[84:85], v[98:99], s[16:17], -v[90:91]
	v_fma_f64 v[92:93], v[98:99], s[6:7], -v[94:95]
	;; [unrolled: 1-line block ×3, first 2 shown]
	v_fma_f64 v[94:95], v[98:99], s[6:7], v[94:95]
	v_fma_f64 v[30:31], v[98:99], s[10:11], v[30:31]
	;; [unrolled: 1-line block ×3, first 2 shown]
	v_add_f64 v[18:19], v[18:19], v[76:77]
	v_add_f64 v[22:23], v[22:23], v[24:25]
	;; [unrolled: 1-line block ×9, first 2 shown]
	v_mov_b32_e32 v48, 3
	v_lshlrev_b32_sdwa v17, v48, v17 dst_sel:DWORD dst_unused:UNUSED_PAD src0_sel:DWORD src1_sel:BYTE_0
	v_add3_u32 v80, v16, v17, v103
	ds_write2_b64 v80, v[18:19], v[20:21] offset1:17
	ds_write2_b64 v80, v[22:23], v[26:27] offset0:34 offset1:51
	ds_write2_b64 v80, v[81:82], v[83:84] offset0:68 offset1:85
	;; [unrolled: 1-line block ×4, first 2 shown]
	ds_write_b64 v80, v[0:1] offset:1360
	v_add_u32_e32 v81, 0xc00, v78
	s_waitcnt lgkmcnt(0)
	s_barrier
	ds_read2_b64 v[16:19], v78 offset0:85 offset1:187
	ds_read2_b64 v[20:23], v177 offset0:16 offset1:118
	;; [unrolled: 1-line block ×4, first 2 shown]
	ds_read_b64 v[48:49], v79
	ds_read_b64 v[54:55], v78 offset:6664
	s_and_saveexec_b64 s[38:39], s[0:1]
	s_cbranch_execz .LBB0_16
; %bb.15:
	v_add_u32_e32 v0, 0x400, v78
	v_add_u32_e32 v4, 0x1000, v78
	ds_read2_b64 v[0:3], v0 offset0:42 offset1:229
	ds_read2_b64 v[4:7], v4 offset0:32 offset1:219
	ds_read_b64 v[108:109], v78 offset:7344
.LBB0_16:
	s_or_b64 exec, exec, s[38:39]
	v_add_f64 v[82:83], v[8:9], v[74:75]
	v_add_f64 v[72:73], v[72:73], -v[76:77]
	v_add_f64 v[76:77], v[62:63], v[56:57]
	v_add_f64 v[68:69], v[68:69], -v[70:71]
	v_add_f64 v[70:71], v[60:61], v[58:59]
	v_add_f64 v[74:75], v[74:75], v[52:53]
	v_add_f64 v[64:65], v[64:65], -v[66:67]
	v_add_f64 v[42:43], v[42:43], -v[44:45]
	v_add_f64 v[62:63], v[82:83], v[62:63]
	v_mul_f64 v[66:67], v[72:73], s[20:21]
	v_mul_f64 v[82:83], v[72:73], s[34:35]
	;; [unrolled: 1-line block ×7, first 2 shown]
	v_add_f64 v[60:61], v[62:63], v[60:61]
	v_fma_f64 v[100:101], v[74:75], s[4:5], v[66:67]
	v_fma_f64 v[110:111], v[74:75], s[6:7], v[82:83]
	v_mul_f64 v[92:93], v[68:69], s[36:37]
	v_mul_f64 v[62:63], v[68:69], s[30:31]
	;; [unrolled: 1-line block ×5, first 2 shown]
	v_add_f64 v[60:61], v[60:61], v[40:41]
	v_fma_f64 v[66:67], v[74:75], s[4:5], -v[66:67]
	v_fma_f64 v[82:83], v[74:75], s[6:7], -v[82:83]
	v_fma_f64 v[112:113], v[74:75], s[10:11], v[84:85]
	v_fma_f64 v[84:85], v[74:75], s[10:11], -v[84:85]
	v_fma_f64 v[114:115], v[74:75], s[16:17], v[86:87]
	;; [unrolled: 2-line block ×3, first 2 shown]
	v_add_f64 v[60:61], v[60:61], v[32:33]
	v_fma_f64 v[72:73], v[74:75], s[22:23], -v[72:73]
	v_fma_f64 v[74:75], v[76:77], s[6:7], v[88:89]
	v_fma_f64 v[118:119], v[76:77], s[16:17], v[90:91]
	v_add_f64 v[100:101], v[8:9], v[100:101]
	v_add_f64 v[110:111], v[8:9], v[110:111]
	v_mul_f64 v[98:99], v[64:65], s[28:29]
	v_fma_f64 v[88:89], v[76:77], s[6:7], -v[88:89]
	v_add_f64 v[60:61], v[60:61], v[34:35]
	v_fma_f64 v[90:91], v[76:77], s[16:17], -v[90:91]
	v_fma_f64 v[120:121], v[76:77], s[22:23], v[92:93]
	v_fma_f64 v[92:93], v[76:77], s[22:23], -v[92:93]
	v_fma_f64 v[122:123], v[76:77], s[10:11], v[62:63]
	;; [unrolled: 2-line block ×3, first 2 shown]
	v_fma_f64 v[68:69], v[76:77], s[4:5], -v[68:69]
	v_add_f64 v[60:61], v[60:61], v[46:47]
	v_fma_f64 v[76:77], v[70:71], s[10:11], v[94:95]
	v_fma_f64 v[126:127], v[70:71], s[22:23], v[96:97]
	v_add_f64 v[66:67], v[8:9], v[66:67]
	v_add_f64 v[82:83], v[8:9], v[82:83]
	;; [unrolled: 1-line block ×12, first 2 shown]
	v_mul_f64 v[44:45], v[64:65], s[20:21]
	v_add_f64 v[56:57], v[58:59], v[56:57]
	v_add_f64 v[58:59], v[90:91], v[82:83]
	;; [unrolled: 1-line block ×4, first 2 shown]
	v_fma_f64 v[68:69], v[70:71], s[6:7], v[98:99]
	v_mul_f64 v[64:65], v[64:65], s[18:19]
	v_add_f64 v[40:41], v[40:41], v[46:47]
	v_mul_f64 v[46:47], v[42:43], s[18:19]
	v_add_f64 v[52:53], v[56:57], v[52:53]
	v_add_f64 v[56:57], v[76:77], v[72:73]
	;; [unrolled: 1-line block ×3, first 2 shown]
	v_fma_f64 v[74:75], v[70:71], s[6:7], -v[98:99]
	v_fma_f64 v[94:95], v[70:71], s[10:11], -v[94:95]
	;; [unrolled: 1-line block ×3, first 2 shown]
	v_add_f64 v[66:67], v[88:89], v[66:67]
	v_add_f64 v[60:61], v[122:123], v[60:61]
	v_fma_f64 v[76:77], v[70:71], s[4:5], v[44:45]
	v_add_f64 v[68:69], v[68:69], v[82:83]
	v_mul_f64 v[82:83], v[42:43], s[30:31]
	v_fma_f64 v[44:45], v[70:71], s[4:5], -v[44:45]
	v_fma_f64 v[88:89], v[70:71], s[16:17], v[64:65]
	v_add_f64 v[74:75], v[74:75], v[84:85]
	v_fma_f64 v[64:65], v[70:71], s[16:17], -v[64:65]
	v_fma_f64 v[70:71], v[40:41], s[16:17], v[46:47]
	v_mul_f64 v[84:85], v[42:43], s[20:21]
	v_add_f64 v[62:63], v[62:63], v[86:87]
	v_add_f64 v[86:87], v[124:125], v[114:115]
	;; [unrolled: 1-line block ×5, first 2 shown]
	v_fma_f64 v[46:47], v[40:41], s[16:17], -v[46:47]
	v_fma_f64 v[76:77], v[40:41], s[10:11], v[82:83]
	v_add_f64 v[8:9], v[64:65], v[8:9]
	v_add_f64 v[56:57], v[70:71], v[56:57]
	v_mul_f64 v[64:65], v[42:43], s[24:25]
	v_add_f64 v[36:37], v[36:37], -v[38:39]
	v_fma_f64 v[38:39], v[40:41], s[10:11], -v[82:83]
	v_fma_f64 v[70:71], v[40:41], s[4:5], v[84:85]
	v_mul_f64 v[42:43], v[42:43], s[28:29]
	v_add_f64 v[44:45], v[44:45], v[62:63]
	v_add_f64 v[62:63], v[88:89], v[86:87]
	;; [unrolled: 1-line block ×4, first 2 shown]
	v_fma_f64 v[76:77], v[40:41], s[22:23], v[64:65]
	v_fma_f64 v[64:65], v[40:41], s[22:23], -v[64:65]
	v_add_f64 v[32:33], v[32:33], v[34:35]
	v_mul_f64 v[34:35], v[36:37], s[24:25]
	v_add_f64 v[38:39], v[38:39], v[58:59]
	v_add_f64 v[58:59], v[70:71], v[68:69]
	v_fma_f64 v[68:69], v[40:41], s[6:7], v[42:43]
	v_fma_f64 v[72:73], v[40:41], s[4:5], -v[84:85]
	v_fma_f64 v[40:41], v[40:41], s[6:7], -v[42:43]
	v_add_f64 v[42:43], v[64:65], v[44:45]
	v_mul_f64 v[64:65], v[36:37], s[26:27]
	v_fma_f64 v[44:45], v[32:33], s[22:23], v[34:35]
	v_fma_f64 v[34:35], v[32:33], s[22:23], -v[34:35]
	v_add_f64 v[60:61], v[76:77], v[60:61]
	v_add_f64 v[62:63], v[68:69], v[62:63]
	v_mul_f64 v[68:69], v[36:37], s[18:19]
	v_add_f64 v[70:71], v[72:73], v[74:75]
	v_mul_f64 v[72:73], v[36:37], s[28:29]
	v_mul_f64 v[36:37], v[36:37], s[12:13]
	v_add_f64 v[40:41], v[40:41], v[8:9]
	v_add_f64 v[44:45], v[44:45], v[56:57]
	;; [unrolled: 1-line block ×3, first 2 shown]
	v_fma_f64 v[34:35], v[32:33], s[4:5], v[64:65]
	v_fma_f64 v[46:47], v[32:33], s[4:5], -v[64:65]
	v_fma_f64 v[56:57], v[32:33], s[16:17], v[68:69]
	v_fma_f64 v[64:65], v[32:33], s[6:7], v[72:73]
	;; [unrolled: 1-line block ×3, first 2 shown]
	v_fma_f64 v[72:73], v[32:33], s[6:7], -v[72:73]
	v_fma_f64 v[36:37], v[32:33], s[10:11], -v[36:37]
	;; [unrolled: 1-line block ×3, first 2 shown]
	v_add_f64 v[34:35], v[34:35], v[66:67]
	v_add_f64 v[38:39], v[46:47], v[38:39]
	;; [unrolled: 1-line block ×8, first 2 shown]
	s_waitcnt lgkmcnt(0)
	s_barrier
	ds_write2_b64 v80, v[52:53], v[44:45] offset1:17
	ds_write2_b64 v80, v[34:35], v[46:47] offset0:34 offset1:51
	ds_write2_b64 v80, v[56:57], v[58:59] offset0:68 offset1:85
	;; [unrolled: 1-line block ×4, first 2 shown]
	ds_write_b64 v80, v[8:9] offset:1360
	v_add_u32_e32 v36, 0x800, v78
	v_add_u32_e32 v52, 0x1000, v78
	s_waitcnt lgkmcnt(0)
	s_barrier
	ds_read2_b64 v[32:35], v78 offset0:85 offset1:187
	ds_read2_b64 v[40:43], v36 offset0:16 offset1:118
	ds_read2_b64 v[36:39], v81 offset0:75 offset1:177
	ds_read2_b64 v[44:47], v52 offset0:134 offset1:236
	ds_read_b64 v[56:57], v79
	ds_read_b64 v[58:59], v78 offset:6664
	s_and_saveexec_b64 s[4:5], s[0:1]
	s_cbranch_execz .LBB0_18
; %bb.17:
	v_add_u32_e32 v8, 0x400, v78
	ds_read2_b64 v[8:11], v8 offset0:42 offset1:229
	ds_read2_b64 v[12:15], v52 offset0:32 offset1:219
	ds_read_b64 v[50:51], v78 offset:7344
.LBB0_18:
	s_or_b64 exec, exec, s[4:5]
	s_and_saveexec_b64 s[4:5], vcc
	s_cbranch_execz .LBB0_21
; %bb.19:
	v_add_u32_e32 v116, 0x55, v102
	v_lshlrev_b32_e32 v52, 2, v116
	v_mov_b32_e32 v53, 0
	v_lshlrev_b64 v[60:61], 4, v[52:53]
	v_mov_b32_e32 v78, s9
	v_add_co_u32_e32 v76, vcc, s8, v60
	v_addc_co_u32_e32 v77, vcc, v78, v61, vcc
	global_load_dwordx4 v[60:63], v[76:77], off offset:2768
	global_load_dwordx4 v[64:67], v[76:77], off offset:2752
	;; [unrolled: 1-line block ×4, first 2 shown]
	v_lshlrev_b32_e32 v52, 2, v102
	v_lshlrev_b64 v[76:77], 4, v[52:53]
	v_mul_lo_u32 v52, s3, v106
	v_add_co_u32_e32 v92, vcc, s8, v76
	v_addc_co_u32_e32 v93, vcc, v78, v77, vcc
	global_load_dwordx4 v[76:79], v[92:93], off offset:2736
	global_load_dwordx4 v[80:83], v[92:93], off offset:2720
	;; [unrolled: 1-line block ×4, first 2 shown]
	v_mul_lo_u32 v94, s2, v107
	v_mad_u64_u32 v[92:93], s[2:3], s2, v106, 0
	s_mov_b32 s10, 0x134454ff
	s_mov_b32 s11, 0xbfee6f0e
	v_add3_u32 v93, v93, v94, v52
	s_mov_b32 s13, 0x3fee6f0e
	s_mov_b32 s12, s10
	;; [unrolled: 1-line block ×8, first 2 shown]
	v_mov_b32_e32 v103, v53
	s_mov_b32 s16, 0xaf3addc7
	v_mul_hi_u32 v52, v116, s16
	s_waitcnt vmcnt(7)
	v_mul_f64 v[100:101], v[54:55], v[62:63]
	s_waitcnt vmcnt(6)
	v_mul_f64 v[98:99], v[28:29], v[66:67]
	;; [unrolled: 2-line block ×4, first 2 shown]
	s_waitcnt lgkmcnt(4)
	v_mul_f64 v[74:75], v[40:41], v[74:75]
	s_waitcnt lgkmcnt(0)
	v_mul_f64 v[62:63], v[58:59], v[62:63]
	v_mul_f64 v[70:71], v[36:37], v[70:71]
	;; [unrolled: 1-line block ×3, first 2 shown]
	s_waitcnt vmcnt(3)
	v_mul_f64 v[106:107], v[22:23], v[78:79]
	s_waitcnt vmcnt(2)
	v_mul_f64 v[110:111], v[18:19], v[82:83]
	;; [unrolled: 2-line block ×4, first 2 shown]
	v_mul_f64 v[90:91], v[46:47], v[90:91]
	v_mul_f64 v[78:79], v[42:43], v[78:79]
	;; [unrolled: 1-line block ×3, first 2 shown]
	v_fma_f64 v[36:37], v[36:37], v[68:69], v[94:95]
	v_fma_f64 v[40:41], v[40:41], v[72:73], v[96:97]
	;; [unrolled: 1-line block ×4, first 2 shown]
	v_fma_f64 v[20:21], v[20:21], v[72:73], -v[74:75]
	v_fma_f64 v[54:55], v[54:55], v[60:61], -v[62:63]
	;; [unrolled: 1-line block ×4, first 2 shown]
	v_mul_f64 v[82:83], v[34:35], v[82:83]
	v_fma_f64 v[60:61], v[34:35], v[80:81], v[110:111]
	v_fma_f64 v[62:63], v[38:39], v[84:85], v[112:113]
	;; [unrolled: 1-line block ×3, first 2 shown]
	v_fma_f64 v[66:67], v[30:31], v[88:89], -v[90:91]
	v_fma_f64 v[64:65], v[22:23], v[76:77], -v[78:79]
	;; [unrolled: 1-line block ×3, first 2 shown]
	v_add_f64 v[22:23], v[36:37], -v[40:41]
	v_add_f64 v[26:27], v[44:45], -v[58:59]
	v_add_f64 v[34:35], v[40:41], v[58:59]
	v_add_f64 v[70:71], v[40:41], -v[36:37]
	v_add_f64 v[72:73], v[58:59], -v[44:45]
	v_add_f64 v[74:75], v[36:37], v[44:45]
	v_add_f64 v[84:85], v[20:21], v[54:55]
	;; [unrolled: 1-line block ×3, first 2 shown]
	v_fma_f64 v[42:43], v[42:43], v[76:77], v[106:107]
	v_fma_f64 v[18:19], v[18:19], v[80:81], -v[82:83]
	v_add_f64 v[30:31], v[20:21], -v[54:55]
	v_add_f64 v[38:39], v[24:25], -v[28:29]
	v_add_f64 v[76:77], v[32:33], v[40:41]
	v_add_f64 v[78:79], v[24:25], -v[20:21]
	v_add_f64 v[80:81], v[28:29], -v[54:55]
	;; [unrolled: 1-line block ×5, first 2 shown]
	v_add_f64 v[20:21], v[16:17], v[20:21]
	v_add_f64 v[100:101], v[60:61], v[46:47]
	;; [unrolled: 1-line block ×3, first 2 shown]
	v_fma_f64 v[26:27], v[34:35], -0.5, v[32:33]
	v_add_f64 v[34:35], v[70:71], v[72:73]
	v_fma_f64 v[32:33], v[74:75], -0.5, v[32:33]
	v_fma_f64 v[72:73], v[84:85], -0.5, v[16:17]
	;; [unrolled: 1-line block ×3, first 2 shown]
	v_add_f64 v[82:83], v[36:37], -v[44:45]
	v_add_f64 v[106:107], v[64:65], -v[68:69]
	v_add_f64 v[36:37], v[36:37], v[76:77]
	v_add_f64 v[70:71], v[78:79], v[80:81]
	v_add_f64 v[74:75], v[86:87], v[88:89]
	v_add_f64 v[20:21], v[24:25], v[20:21]
	v_fma_f64 v[24:25], v[100:101], -0.5, v[56:57]
	v_fma_f64 v[80:81], v[38:39], s[10:11], v[26:27]
	v_fma_f64 v[26:27], v[38:39], s[12:13], v[26:27]
	;; [unrolled: 1-line block ×6, first 2 shown]
	v_add_f64 v[94:95], v[42:43], -v[60:61]
	v_add_f64 v[96:97], v[62:63], -v[46:47]
	;; [unrolled: 1-line block ×3, first 2 shown]
	v_add_f64 v[36:37], v[44:45], v[36:37]
	v_fma_f64 v[44:45], v[82:83], s[12:13], v[72:73]
	v_fma_f64 v[72:73], v[82:83], s[10:11], v[72:73]
	v_add_f64 v[20:21], v[28:29], v[20:21]
	v_fma_f64 v[90:91], v[106:107], s[12:13], v[24:25]
	v_fma_f64 v[28:29], v[30:31], s[4:5], v[80:81]
	;; [unrolled: 1-line block ×6, first 2 shown]
	v_add_f64 v[110:111], v[42:43], v[62:63]
	v_add_f64 v[76:77], v[94:95], v[96:97]
	v_fma_f64 v[88:89], v[106:107], s[10:11], v[24:25]
	v_add_f64 v[24:25], v[36:37], v[58:59]
	v_fma_f64 v[44:45], v[40:41], s[6:7], v[44:45]
	v_fma_f64 v[58:59], v[40:41], s[4:5], v[72:73]
	;; [unrolled: 1-line block ×6, first 2 shown]
	v_fma_f64 v[78:79], v[110:111], -0.5, v[56:57]
	v_fma_f64 v[36:37], v[34:35], s[2:3], v[30:31]
	v_fma_f64 v[28:29], v[22:23], s[2:3], v[28:29]
	;; [unrolled: 1-line block ×4, first 2 shown]
	v_add_f64 v[74:75], v[56:57], v[60:61]
	v_fma_f64 v[26:27], v[70:71], s[2:3], v[44:45]
	v_fma_f64 v[56:57], v[76:77], s[2:3], v[16:17]
	v_add_f64 v[16:17], v[64:65], v[68:69]
	v_fma_f64 v[30:31], v[70:71], s[2:3], v[58:59]
	v_add_f64 v[22:23], v[20:21], v[54:55]
	v_add_f64 v[20:21], v[60:61], -v[42:43]
	v_add_f64 v[54:55], v[46:47], -v[62:63]
	v_fma_f64 v[58:59], v[98:99], s[12:13], v[78:79]
	v_add_f64 v[70:71], v[18:19], v[66:67]
	v_add_f64 v[60:61], v[60:61], -v[46:47]
	v_fma_f64 v[16:17], v[16:17], -0.5, v[48:49]
	v_fma_f64 v[44:45], v[98:99], s[4:5], v[88:89]
	v_add_f64 v[80:81], v[66:67], -v[68:69]
	v_fma_f64 v[72:73], v[98:99], s[10:11], v[78:79]
	v_add_f64 v[20:21], v[20:21], v[54:55]
	v_fma_f64 v[54:55], v[106:107], s[4:5], v[58:59]
	v_add_f64 v[58:59], v[42:43], -v[62:63]
	v_fma_f64 v[70:71], v[70:71], -0.5, v[48:49]
	v_add_f64 v[48:49], v[48:49], v[18:19]
	v_add_f64 v[42:43], v[42:43], v[74:75]
	v_add_f64 v[74:75], v[64:65], -v[18:19]
	v_add_f64 v[18:19], v[18:19], -v[64:65]
	v_fma_f64 v[82:83], v[60:61], s[10:11], v[16:17]
	v_fma_f64 v[16:17], v[60:61], s[12:13], v[16:17]
	;; [unrolled: 1-line block ×3, first 2 shown]
	v_add_f64 v[76:77], v[68:69], -v[66:67]
	v_fma_f64 v[78:79], v[58:59], s[12:13], v[70:71]
	v_fma_f64 v[70:71], v[58:59], s[10:11], v[70:71]
	v_add_f64 v[48:49], v[64:65], v[48:49]
	v_add_f64 v[18:19], v[18:19], v[80:81]
	v_add_f64 v[42:43], v[42:43], v[62:63]
	v_fma_f64 v[16:17], v[58:59], s[4:5], v[16:17]
	v_fma_f64 v[72:73], v[106:107], s[6:7], v[72:73]
	v_add_f64 v[62:63], v[74:75], v[76:77]
	v_fma_f64 v[76:77], v[58:59], s[6:7], v[82:83]
	v_fma_f64 v[74:75], v[60:61], s[6:7], v[78:79]
	;; [unrolled: 1-line block ×3, first 2 shown]
	v_add_f64 v[68:69], v[68:69], v[48:49]
	v_add_f64 v[64:65], v[42:43], v[46:47]
	v_fma_f64 v[58:59], v[18:19], s[2:3], v[16:17]
	v_lshlrev_b64 v[16:17], 4, v[92:93]
	v_fma_f64 v[48:49], v[20:21], s[2:3], v[54:55]
	v_fma_f64 v[46:47], v[18:19], s[2:3], v[76:77]
	v_mov_b32_e32 v18, s15
	v_add_co_u32_e32 v19, vcc, s14, v16
	v_addc_co_u32_e32 v18, vcc, v18, v17, vcc
	v_lshlrev_b64 v[16:17], 4, v[104:105]
	v_fma_f64 v[42:43], v[62:63], s[2:3], v[74:75]
	v_fma_f64 v[54:55], v[62:63], s[2:3], v[70:71]
	v_add_f64 v[62:63], v[68:69], v[66:67]
	v_fma_f64 v[60:61], v[20:21], s[2:3], v[72:73]
	v_add_co_u32_e32 v20, vcc, v19, v16
	v_addc_co_u32_e32 v21, vcc, v18, v17, vcc
	v_lshlrev_b64 v[16:17], 4, v[102:103]
	s_movk_i32 s14, 0x1000
	v_add_co_u32_e32 v16, vcc, v20, v16
	v_addc_co_u32_e32 v17, vcc, v21, v17, vcc
	v_add_co_u32_e32 v18, vcc, s14, v16
	v_addc_co_u32_e32 v19, vcc, 0, v17, vcc
	s_movk_i32 s15, 0x2000
	global_store_dwordx4 v[16:17], v[62:65], off
	global_store_dwordx4 v[16:17], v[58:61], off offset:2992
	global_store_dwordx4 v[18:19], v[54:57], off offset:1888
	s_nop 0
	v_add_co_u32_e32 v54, vcc, s15, v16
	v_addc_co_u32_e32 v55, vcc, 0, v17, vcc
	global_store_dwordx4 v[54:55], v[42:45], off offset:784
	global_store_dwordx4 v[54:55], v[46:49], off offset:3776
	v_lshrrev_b32_e32 v42, 7, v52
	v_mul_u32_u24_e32 v52, 0x2ec, v42
	v_lshlrev_b64 v[42:43], 4, v[52:53]
	s_movk_i32 s15, 0x550
	v_add_co_u32_e32 v42, vcc, v16, v42
	v_addc_co_u32_e32 v43, vcc, v17, v43, vcc
	v_add_co_u32_e32 v44, vcc, s15, v42
	v_addc_co_u32_e32 v45, vcc, 0, v43, vcc
	global_store_dwordx4 v[42:43], v[22:25], off offset:1360
	global_store_dwordx4 v[44:45], v[38:41], off offset:2992
	v_add_co_u32_e32 v22, vcc, s14, v42
	v_addc_co_u32_e32 v23, vcc, 0, v43, vcc
	global_store_dwordx4 v[22:23], v[30:33], off offset:3248
	v_add_co_u32_e32 v22, vcc, 0x2000, v42
	v_addc_co_u32_e32 v23, vcc, 0, v43, vcc
	global_store_dwordx4 v[22:23], v[26:29], off offset:2144
	v_add_co_u32_e32 v22, vcc, 0x3000, v42
	v_addc_co_u32_e32 v23, vcc, 0, v43, vcc
	global_store_dwordx4 v[22:23], v[34:37], off offset:1040
	s_and_b64 exec, exec, s[0:1]
	s_cbranch_execz .LBB0_21
; %bb.20:
	v_not_b32_e32 v22, 16
	v_mov_b32_e32 v23, 0xaa
	v_cndmask_b32_e64 v22, v22, v23, s[0:1]
	v_add_lshl_u32 v52, v102, v22, 2
	v_lshlrev_b64 v[22:23], 4, v[52:53]
	v_mov_b32_e32 v24, s9
	v_add_co_u32_e32 v38, vcc, s8, v22
	v_addc_co_u32_e32 v39, vcc, v24, v23, vcc
	global_load_dwordx4 v[22:25], v[38:39], off offset:2720
	global_load_dwordx4 v[26:29], v[38:39], off offset:2736
	;; [unrolled: 1-line block ×4, first 2 shown]
	v_or_b32_e32 v52, 0x220, v102
	v_add_co_u32_e32 v38, vcc, 0x2000, v16
	v_addc_co_u32_e32 v39, vcc, 0, v17, vcc
	v_add_co_u32_e32 v40, vcc, 0x3000, v16
	s_waitcnt vmcnt(3)
	v_mul_f64 v[41:42], v[10:11], v[24:25]
	v_mul_f64 v[24:25], v[2:3], v[24:25]
	s_waitcnt vmcnt(2)
	v_mul_f64 v[43:44], v[12:13], v[28:29]
	v_mul_f64 v[28:29], v[4:5], v[28:29]
	;; [unrolled: 3-line block ×4, first 2 shown]
	v_fma_f64 v[2:3], v[2:3], v[22:23], -v[41:42]
	v_fma_f64 v[10:11], v[10:11], v[22:23], v[24:25]
	v_fma_f64 v[4:5], v[4:5], v[26:27], -v[43:44]
	v_fma_f64 v[12:13], v[12:13], v[26:27], v[28:29]
	;; [unrolled: 2-line block ×3, first 2 shown]
	v_fma_f64 v[22:23], v[50:51], v[34:35], v[47:48]
	v_fma_f64 v[24:25], v[108:109], v[34:35], -v[36:37]
	v_lshlrev_b64 v[26:27], 4, v[52:53]
	v_add_f64 v[28:29], v[0:1], v[2:3]
	v_add_f64 v[36:37], v[2:3], -v[4:5]
	v_add_f64 v[50:51], v[8:9], v[10:11]
	v_add_f64 v[30:31], v[4:5], v[6:7]
	;; [unrolled: 1-line block ×3, first 2 shown]
	v_add_f64 v[46:47], v[4:5], -v[2:3]
	v_add_f64 v[42:43], v[24:25], -v[6:7]
	v_add_f64 v[44:45], v[2:3], v[24:25]
	v_add_f64 v[54:55], v[2:3], -v[24:25]
	v_add_f64 v[2:3], v[10:11], -v[12:13]
	;; [unrolled: 1-line block ×3, first 2 shown]
	v_add_f64 v[60:61], v[10:11], v[22:23]
	v_add_f64 v[32:33], v[10:11], -v[22:23]
	v_add_f64 v[34:35], v[12:13], -v[14:15]
	;; [unrolled: 1-line block ×4, first 2 shown]
	v_add_f64 v[4:5], v[28:29], v[4:5]
	v_fma_f64 v[28:29], v[30:31], -0.5, v[0:1]
	v_add_f64 v[30:31], v[36:37], v[42:43]
	v_add_f64 v[12:13], v[50:51], v[12:13]
	v_fma_f64 v[42:43], v[52:53], -0.5, v[8:9]
	v_add_f64 v[48:49], v[6:7], -v[24:25]
	v_add_f64 v[62:63], v[14:15], -v[22:23]
	v_fma_f64 v[0:1], v[44:45], -0.5, v[0:1]
	v_add_f64 v[44:45], v[2:3], v[58:59]
	v_fma_f64 v[2:3], v[60:61], -0.5, v[8:9]
	v_add_f64 v[4:5], v[4:5], v[6:7]
	v_fma_f64 v[6:7], v[32:33], s[12:13], v[28:29]
	v_fma_f64 v[8:9], v[32:33], s[10:11], v[28:29]
	v_add_f64 v[12:13], v[12:13], v[14:15]
	v_fma_f64 v[14:15], v[54:55], s[10:11], v[42:43]
	v_add_f64 v[36:37], v[46:47], v[48:49]
	v_add_f64 v[46:47], v[10:11], v[62:63]
	v_fma_f64 v[10:11], v[34:35], s[10:11], v[0:1]
	v_fma_f64 v[28:29], v[34:35], s[12:13], v[0:1]
	;; [unrolled: 1-line block ×5, first 2 shown]
	v_add_f64 v[0:1], v[4:5], v[24:25]
	v_fma_f64 v[4:5], v[34:35], s[4:5], v[6:7]
	v_fma_f64 v[6:7], v[34:35], s[6:7], v[8:9]
	;; [unrolled: 1-line block ×8, first 2 shown]
	v_add_f64 v[2:3], v[12:13], v[22:23]
	v_fma_f64 v[4:5], v[30:31], s[2:3], v[4:5]
	v_fma_f64 v[8:9], v[30:31], s[2:3], v[6:7]
	;; [unrolled: 1-line block ×8, first 2 shown]
	v_addc_co_u32_e32 v41, vcc, 0, v17, vcc
	v_add_co_u32_e32 v20, vcc, v20, v26
	v_addc_co_u32_e32 v21, vcc, v21, v27, vcc
	global_store_dwordx4 v[16:17], v[0:3], off offset:2720
	global_store_dwordx4 v[18:19], v[4:7], off offset:1616
	global_store_dwordx4 v[20:21], v[12:15], off
	global_store_dwordx4 v[38:39], v[22:25], off offset:3504
	global_store_dwordx4 v[40:41], v[8:11], off offset:2400
.LBB0_21:
	s_endpgm
	.section	.rodata,"a",@progbits
	.p2align	6, 0x0
	.amdhsa_kernel fft_rtc_fwd_len935_factors_17_11_5_wgs_255_tpt_85_halfLds_dp_op_CI_CI_unitstride_sbrr_dirReg
		.amdhsa_group_segment_fixed_size 0
		.amdhsa_private_segment_fixed_size 0
		.amdhsa_kernarg_size 104
		.amdhsa_user_sgpr_count 6
		.amdhsa_user_sgpr_private_segment_buffer 1
		.amdhsa_user_sgpr_dispatch_ptr 0
		.amdhsa_user_sgpr_queue_ptr 0
		.amdhsa_user_sgpr_kernarg_segment_ptr 1
		.amdhsa_user_sgpr_dispatch_id 0
		.amdhsa_user_sgpr_flat_scratch_init 0
		.amdhsa_user_sgpr_private_segment_size 0
		.amdhsa_uses_dynamic_stack 0
		.amdhsa_system_sgpr_private_segment_wavefront_offset 0
		.amdhsa_system_sgpr_workgroup_id_x 1
		.amdhsa_system_sgpr_workgroup_id_y 0
		.amdhsa_system_sgpr_workgroup_id_z 0
		.amdhsa_system_sgpr_workgroup_info 0
		.amdhsa_system_vgpr_workitem_id 0
		.amdhsa_next_free_vgpr 252
		.amdhsa_next_free_sgpr 60
		.amdhsa_reserve_vcc 1
		.amdhsa_reserve_flat_scratch 0
		.amdhsa_float_round_mode_32 0
		.amdhsa_float_round_mode_16_64 0
		.amdhsa_float_denorm_mode_32 3
		.amdhsa_float_denorm_mode_16_64 3
		.amdhsa_dx10_clamp 1
		.amdhsa_ieee_mode 1
		.amdhsa_fp16_overflow 0
		.amdhsa_exception_fp_ieee_invalid_op 0
		.amdhsa_exception_fp_denorm_src 0
		.amdhsa_exception_fp_ieee_div_zero 0
		.amdhsa_exception_fp_ieee_overflow 0
		.amdhsa_exception_fp_ieee_underflow 0
		.amdhsa_exception_fp_ieee_inexact 0
		.amdhsa_exception_int_div_zero 0
	.end_amdhsa_kernel
	.text
.Lfunc_end0:
	.size	fft_rtc_fwd_len935_factors_17_11_5_wgs_255_tpt_85_halfLds_dp_op_CI_CI_unitstride_sbrr_dirReg, .Lfunc_end0-fft_rtc_fwd_len935_factors_17_11_5_wgs_255_tpt_85_halfLds_dp_op_CI_CI_unitstride_sbrr_dirReg
                                        ; -- End function
	.section	.AMDGPU.csdata,"",@progbits
; Kernel info:
; codeLenInByte = 14540
; NumSgprs: 64
; NumVgprs: 252
; ScratchSize: 0
; MemoryBound: 1
; FloatMode: 240
; IeeeMode: 1
; LDSByteSize: 0 bytes/workgroup (compile time only)
; SGPRBlocks: 7
; VGPRBlocks: 62
; NumSGPRsForWavesPerEU: 64
; NumVGPRsForWavesPerEU: 252
; Occupancy: 1
; WaveLimiterHint : 1
; COMPUTE_PGM_RSRC2:SCRATCH_EN: 0
; COMPUTE_PGM_RSRC2:USER_SGPR: 6
; COMPUTE_PGM_RSRC2:TRAP_HANDLER: 0
; COMPUTE_PGM_RSRC2:TGID_X_EN: 1
; COMPUTE_PGM_RSRC2:TGID_Y_EN: 0
; COMPUTE_PGM_RSRC2:TGID_Z_EN: 0
; COMPUTE_PGM_RSRC2:TIDIG_COMP_CNT: 0
	.type	__hip_cuid_84e74a18ef056934,@object ; @__hip_cuid_84e74a18ef056934
	.section	.bss,"aw",@nobits
	.globl	__hip_cuid_84e74a18ef056934
__hip_cuid_84e74a18ef056934:
	.byte	0                               ; 0x0
	.size	__hip_cuid_84e74a18ef056934, 1

	.ident	"AMD clang version 19.0.0git (https://github.com/RadeonOpenCompute/llvm-project roc-6.4.0 25133 c7fe45cf4b819c5991fe208aaa96edf142730f1d)"
	.section	".note.GNU-stack","",@progbits
	.addrsig
	.addrsig_sym __hip_cuid_84e74a18ef056934
	.amdgpu_metadata
---
amdhsa.kernels:
  - .args:
      - .actual_access:  read_only
        .address_space:  global
        .offset:         0
        .size:           8
        .value_kind:     global_buffer
      - .offset:         8
        .size:           8
        .value_kind:     by_value
      - .actual_access:  read_only
        .address_space:  global
        .offset:         16
        .size:           8
        .value_kind:     global_buffer
      - .actual_access:  read_only
        .address_space:  global
        .offset:         24
        .size:           8
        .value_kind:     global_buffer
      - .actual_access:  read_only
        .address_space:  global
        .offset:         32
        .size:           8
        .value_kind:     global_buffer
      - .offset:         40
        .size:           8
        .value_kind:     by_value
      - .actual_access:  read_only
        .address_space:  global
        .offset:         48
        .size:           8
        .value_kind:     global_buffer
      - .actual_access:  read_only
        .address_space:  global
        .offset:         56
        .size:           8
        .value_kind:     global_buffer
      - .offset:         64
        .size:           4
        .value_kind:     by_value
      - .actual_access:  read_only
        .address_space:  global
        .offset:         72
        .size:           8
        .value_kind:     global_buffer
      - .actual_access:  read_only
        .address_space:  global
        .offset:         80
        .size:           8
        .value_kind:     global_buffer
      - .actual_access:  read_only
        .address_space:  global
        .offset:         88
        .size:           8
        .value_kind:     global_buffer
      - .actual_access:  write_only
        .address_space:  global
        .offset:         96
        .size:           8
        .value_kind:     global_buffer
    .group_segment_fixed_size: 0
    .kernarg_segment_align: 8
    .kernarg_segment_size: 104
    .language:       OpenCL C
    .language_version:
      - 2
      - 0
    .max_flat_workgroup_size: 255
    .name:           fft_rtc_fwd_len935_factors_17_11_5_wgs_255_tpt_85_halfLds_dp_op_CI_CI_unitstride_sbrr_dirReg
    .private_segment_fixed_size: 0
    .sgpr_count:     64
    .sgpr_spill_count: 0
    .symbol:         fft_rtc_fwd_len935_factors_17_11_5_wgs_255_tpt_85_halfLds_dp_op_CI_CI_unitstride_sbrr_dirReg.kd
    .uniform_work_group_size: 1
    .uses_dynamic_stack: false
    .vgpr_count:     252
    .vgpr_spill_count: 0
    .wavefront_size: 64
amdhsa.target:   amdgcn-amd-amdhsa--gfx906
amdhsa.version:
  - 1
  - 2
...

	.end_amdgpu_metadata
